;; amdgpu-corpus repo=ROCm/rocFFT kind=compiled arch=gfx906 opt=O3
	.text
	.amdgcn_target "amdgcn-amd-amdhsa--gfx906"
	.amdhsa_code_object_version 6
	.protected	bluestein_single_fwd_len165_dim1_sp_op_CI_CI ; -- Begin function bluestein_single_fwd_len165_dim1_sp_op_CI_CI
	.globl	bluestein_single_fwd_len165_dim1_sp_op_CI_CI
	.p2align	8
	.type	bluestein_single_fwd_len165_dim1_sp_op_CI_CI,@function
bluestein_single_fwd_len165_dim1_sp_op_CI_CI: ; @bluestein_single_fwd_len165_dim1_sp_op_CI_CI
; %bb.0:
	v_mul_u32_u24_e32 v1, 0x1746, v0
	s_load_dwordx4 s[8:11], s[4:5], 0x28
	v_lshrrev_b32_e32 v1, 16, v1
	v_mad_u64_u32 v[88:89], s[0:1], s6, 5, v[1:2]
	v_mov_b32_e32 v89, 0
	s_waitcnt lgkmcnt(0)
	v_cmp_gt_u64_e32 vcc, s[8:9], v[88:89]
	s_and_saveexec_b64 s[0:1], vcc
	s_cbranch_execz .LBB0_15
; %bb.1:
	s_load_dwordx4 s[0:3], s[4:5], 0x18
	v_mul_lo_u16_e32 v1, 11, v1
	v_sub_u16_e32 v107, v0, v1
	v_lshlrev_b32_e32 v58, 3, v107
	v_or_b32_e32 v109, 56, v107
	s_waitcnt lgkmcnt(0)
	s_load_dwordx4 s[12:15], s[0:1], 0x0
	s_waitcnt lgkmcnt(0)
	v_mad_u64_u32 v[4:5], s[0:1], s12, v107, 0
	v_mad_u64_u32 v[0:1], s[0:1], s14, v88, 0
	v_mov_b32_e32 v2, v5
	v_mad_u64_u32 v[5:6], s[0:1], s15, v88, v[1:2]
	v_mad_u64_u32 v[2:3], s[0:1], s13, v107, v[2:3]
	v_mov_b32_e32 v1, v5
	v_lshlrev_b64 v[0:1], 3, v[0:1]
	v_mov_b32_e32 v3, s11
	v_mov_b32_e32 v5, v2
	v_add_co_u32_e32 v2, vcc, s10, v0
	v_addc_co_u32_e32 v3, vcc, v3, v1, vcc
	v_lshlrev_b64 v[0:1], 3, v[4:5]
	s_mul_i32 s0, s13, 15
	s_mul_hi_u32 s1, s12, 15
	v_add_co_u32_e32 v0, vcc, v2, v0
	s_add_i32 s1, s1, s0
	s_mul_i32 s0, s12, 15
	v_addc_co_u32_e32 v1, vcc, v3, v1, vcc
	s_lshl_b64 s[16:17], s[0:1], 3
	v_mov_b32_e32 v24, s17
	v_add_co_u32_e32 v4, vcc, s16, v0
	s_load_dwordx2 s[14:15], s[4:5], 0x0
	v_addc_co_u32_e32 v5, vcc, v1, v24, vcc
	v_add_co_u32_e32 v6, vcc, s16, v4
	v_addc_co_u32_e32 v7, vcc, v5, v24, vcc
	v_add_co_u32_e32 v8, vcc, s16, v6
	v_addc_co_u32_e32 v9, vcc, v7, v24, vcc
	s_waitcnt lgkmcnt(0)
	global_load_dwordx2 v[99:100], v58, s[14:15]
	global_load_dwordx2 v[10:11], v[0:1], off
	global_load_dwordx2 v[12:13], v[4:5], off
	;; [unrolled: 1-line block ×4, first 2 shown]
	global_load_dwordx2 v[101:102], v58, s[14:15] offset:120
	global_load_dwordx2 v[97:98], v58, s[14:15] offset:240
	;; [unrolled: 1-line block ×3, first 2 shown]
	v_add_co_u32_e32 v0, vcc, s16, v8
	v_addc_co_u32_e32 v1, vcc, v9, v24, vcc
	global_load_dwordx2 v[4:5], v[0:1], off
	v_add_co_u32_e32 v0, vcc, s16, v0
	v_addc_co_u32_e32 v1, vcc, v1, v24, vcc
	global_load_dwordx2 v[6:7], v[0:1], off
	global_load_dwordx2 v[95:96], v58, s[14:15] offset:480
	global_load_dwordx2 v[89:90], v58, s[14:15] offset:600
	v_add_co_u32_e32 v0, vcc, s16, v0
	v_addc_co_u32_e32 v1, vcc, v1, v24, vcc
	global_load_dwordx2 v[8:9], v[0:1], off
	v_add_co_u32_e32 v0, vcc, s16, v0
	v_addc_co_u32_e32 v1, vcc, v1, v24, vcc
	global_load_dwordx2 v[18:19], v[0:1], off
	global_load_dwordx2 v[91:92], v58, s[14:15] offset:720
	global_load_dwordx2 v[86:87], v58, s[14:15] offset:840
	v_add_co_u32_e32 v0, vcc, s16, v0
	v_addc_co_u32_e32 v1, vcc, v1, v24, vcc
	global_load_dwordx2 v[20:21], v[0:1], off
	global_load_dwordx2 v[84:85], v58, s[14:15] offset:960
	v_add_co_u32_e32 v0, vcc, s16, v0
	v_addc_co_u32_e32 v1, vcc, v1, v24, vcc
	global_load_dwordx2 v[22:23], v[0:1], off
	;; [unrolled: 4-line block ×3, first 2 shown]
	global_load_dwordx2 v[80:81], v58, s[14:15] offset:1200
	s_mov_b32 s0, 0xcccccccd
	v_mul_hi_u32 v26, v88, s0
	v_add_co_u32_e32 v78, vcc, s14, v58
	s_load_dwordx2 s[6:7], s[4:5], 0x38
	s_load_dwordx4 s[8:11], s[2:3], 0x0
	v_lshrrev_b32_e32 v26, 2, v26
	v_lshl_add_u32 v26, v26, 2, v26
	v_sub_u32_e32 v26, v88, v26
	v_mul_u32_u24_e32 v27, 0xa5, v26
	v_mov_b32_e32 v26, s15
	v_addc_co_u32_e32 v79, vcc, 0, v26, vcc
	v_lshlrev_b32_e32 v110, 3, v27
	v_add_u32_e32 v108, v58, v110
	v_cmp_gt_u16_e32 vcc, 4, v107
	s_waitcnt vmcnt(20)
	v_mul_f32_e32 v26, v11, v100
	v_fmac_f32_e32 v26, v10, v99
	v_mul_f32_e32 v10, v10, v100
	v_fma_f32 v27, v11, v99, -v10
	s_waitcnt vmcnt(16)
	v_mul_f32_e32 v10, v13, v102
	v_mul_f32_e32 v11, v12, v102
	v_fmac_f32_e32 v10, v12, v101
	v_fma_f32 v11, v13, v101, -v11
	ds_write2_b64 v108, v[26:27], v[10:11] offset1:15
	s_waitcnt vmcnt(15)
	v_mul_f32_e32 v10, v15, v98
	v_mul_f32_e32 v11, v14, v98
	s_waitcnt vmcnt(14)
	v_mul_f32_e32 v12, v17, v94
	v_mul_f32_e32 v13, v16, v94
	v_fmac_f32_e32 v10, v14, v97
	v_fma_f32 v11, v15, v97, -v11
	v_fmac_f32_e32 v12, v16, v93
	v_fma_f32 v13, v17, v93, -v13
	ds_write2_b64 v108, v[10:11], v[12:13] offset0:30 offset1:45
	s_waitcnt vmcnt(11)
	v_mul_f32_e32 v10, v5, v96
	v_fmac_f32_e32 v10, v4, v95
	v_mul_f32_e32 v4, v4, v96
	v_fma_f32 v11, v5, v95, -v4
	s_waitcnt vmcnt(10)
	v_mul_f32_e32 v4, v7, v90
	v_mul_f32_e32 v5, v6, v90
	v_fmac_f32_e32 v4, v6, v89
	v_fma_f32 v5, v7, v89, -v5
	ds_write2_b64 v108, v[10:11], v[4:5] offset0:60 offset1:75
	s_waitcnt vmcnt(7)
	v_mul_f32_e32 v4, v9, v92
	v_mul_f32_e32 v5, v8, v92
	s_waitcnt vmcnt(6)
	v_mul_f32_e32 v6, v19, v87
	v_mul_f32_e32 v7, v18, v87
	v_fmac_f32_e32 v4, v8, v91
	v_fma_f32 v5, v9, v91, -v5
	v_fmac_f32_e32 v6, v18, v86
	v_fma_f32 v7, v19, v86, -v7
	ds_write2_b64 v108, v[4:5], v[6:7] offset0:90 offset1:105
	s_waitcnt vmcnt(4)
	v_mul_f32_e32 v4, v21, v85
	v_mul_f32_e32 v5, v20, v85
	s_waitcnt vmcnt(2)
	v_mul_f32_e32 v6, v23, v83
	v_mul_f32_e32 v7, v22, v83
	v_fmac_f32_e32 v4, v20, v84
	v_fma_f32 v5, v21, v84, -v5
	v_fmac_f32_e32 v6, v22, v82
	v_fma_f32 v7, v23, v82, -v7
	ds_write2_b64 v108, v[4:5], v[6:7] offset0:120 offset1:135
	s_waitcnt vmcnt(0)
	v_mul_f32_e32 v4, v25, v81
	v_mul_f32_e32 v5, v24, v81
	v_fmac_f32_e32 v4, v24, v80
	v_fma_f32 v5, v25, v80, -v5
	ds_write_b64 v108, v[4:5] offset:1200
	s_and_saveexec_b64 s[2:3], vcc
	s_cbranch_execz .LBB0_3
; %bb.2:
	v_mov_b32_e32 v4, 0xfffffba8
	v_mad_u64_u32 v[0:1], s[0:1], s12, v4, v[0:1]
	s_mul_i32 s0, s13, 0xfffffba8
	s_sub_i32 s0, s0, s12
	v_add_u32_e32 v1, s0, v1
	v_mad_u64_u32 v[6:7], s[0:1], s12, v109, 0
	global_load_dwordx2 v[4:5], v[0:1], off
	v_mov_b32_e32 v44, s17
	v_add_co_u32_e64 v0, s[0:1], s16, v0
	v_addc_co_u32_e64 v1, s[0:1], v1, v44, s[0:1]
	global_load_dwordx2 v[8:9], v[0:1], off
	v_mov_b32_e32 v36, 0xf0
	s_mul_i32 s17, s13, 0xf0
	v_or_b32_e32 v29, 0x74, v107
	s_waitcnt vmcnt(0)
	v_mad_u64_u32 v[10:11], s[0:1], s13, v109, v[7:8]
	v_add_co_u32_e64 v0, s[0:1], s16, v0
	v_addc_co_u32_e64 v1, s[0:1], v1, v44, s[0:1]
	global_load_dwordx2 v[11:12], v[0:1], off
	v_mov_b32_e32 v7, v10
	v_lshlrev_b64 v[6:7], 3, v[6:7]
	v_add_co_u32_e64 v6, s[0:1], v2, v6
	v_addc_co_u32_e64 v7, s[0:1], v3, v7, s[0:1]
	v_mad_u64_u32 v[0:1], s[0:1], s12, v36, v[0:1]
	global_load_dwordx2 v[6:7], v[6:7], off
	s_nop 0
	global_load_dwordx2 v[13:14], v[78:79], off offset:88
	global_load_dwordx2 v[15:16], v[78:79], off offset:208
	;; [unrolled: 1-line block ×4, first 2 shown]
	v_add_u32_e32 v1, s17, v1
	global_load_dwordx2 v[21:22], v[0:1], off
	v_add_co_u32_e64 v0, s[0:1], s16, v0
	v_addc_co_u32_e64 v1, s[0:1], v1, v44, s[0:1]
	v_mad_u64_u32 v[25:26], s[0:1], s12, v29, 0
	global_load_dwordx2 v[23:24], v[0:1], off
	v_add_co_u32_e64 v0, s[0:1], s16, v0
	v_mov_b32_e32 v10, v26
	v_addc_co_u32_e64 v1, s[0:1], v1, v44, s[0:1]
	global_load_dwordx2 v[27:28], v[0:1], off
	v_mad_u64_u32 v[0:1], s[0:1], s12, v36, v[0:1]
	v_add_u32_e32 v1, s17, v1
	s_waitcnt vmcnt(8)
	v_mad_u64_u32 v[29:30], s[0:1], s13, v29, v[10:11]
	global_load_dwordx2 v[30:31], v[78:79], off offset:568
	global_load_dwordx2 v[32:33], v[78:79], off offset:688
	global_load_dwordx2 v[34:35], v[78:79], off offset:808
	v_mov_b32_e32 v26, v29
	v_lshlrev_b64 v[25:26], 3, v[25:26]
	v_add_co_u32_e64 v2, s[0:1], v2, v25
	v_addc_co_u32_e64 v3, s[0:1], v3, v26, s[0:1]
	global_load_dwordx2 v[25:26], v[2:3], off
	global_load_dwordx2 v[36:37], v[78:79], off offset:928
	s_nop 0
	global_load_dwordx2 v[2:3], v[0:1], off
	global_load_dwordx2 v[38:39], v[78:79], off offset:1048
	v_add_co_u32_e64 v0, s[0:1], s16, v0
	v_addc_co_u32_e64 v1, s[0:1], v1, v44, s[0:1]
	global_load_dwordx2 v[40:41], v[0:1], off
	global_load_dwordx2 v[42:43], v[78:79], off offset:1168
	v_add_co_u32_e64 v0, s[0:1], s16, v0
	v_addc_co_u32_e64 v1, s[0:1], v1, v44, s[0:1]
	global_load_dwordx2 v[44:45], v[78:79], off offset:1288
	global_load_dwordx2 v[46:47], v[0:1], off
	s_waitcnt vmcnt(17)
	v_mul_f32_e32 v0, v5, v14
	v_mul_f32_e32 v1, v4, v14
	v_fmac_f32_e32 v0, v4, v13
	v_fma_f32 v1, v5, v13, -v1
	s_waitcnt vmcnt(16)
	v_mul_f32_e32 v4, v9, v16
	v_mul_f32_e32 v5, v8, v16
	v_fmac_f32_e32 v4, v8, v15
	v_fma_f32 v5, v9, v15, -v5
	ds_write2_b64 v108, v[0:1], v[4:5] offset0:11 offset1:26
	s_waitcnt vmcnt(15)
	v_mul_f32_e32 v0, v12, v18
	v_mul_f32_e32 v1, v11, v18
	s_waitcnt vmcnt(14)
	v_mul_f32_e32 v4, v7, v20
	v_mul_f32_e32 v5, v6, v20
	v_fmac_f32_e32 v0, v11, v17
	v_fma_f32 v1, v12, v17, -v1
	v_fmac_f32_e32 v4, v6, v19
	v_fma_f32 v5, v7, v19, -v5
	ds_write2_b64 v108, v[0:1], v[4:5] offset0:41 offset1:56
	s_waitcnt vmcnt(10)
	v_mul_f32_e32 v0, v22, v31
	v_mul_f32_e32 v1, v21, v31
	s_waitcnt vmcnt(9)
	v_mul_f32_e32 v4, v24, v33
	v_mul_f32_e32 v5, v23, v33
	v_fmac_f32_e32 v0, v21, v30
	v_fma_f32 v1, v22, v30, -v1
	;; [unrolled: 11-line block ×3, first 2 shown]
	v_fmac_f32_e32 v4, v25, v36
	v_fma_f32 v5, v26, v36, -v5
	ds_write2_b64 v108, v[0:1], v[4:5] offset0:101 offset1:116
	s_waitcnt vmcnt(4)
	v_mul_f32_e32 v0, v3, v39
	v_mul_f32_e32 v1, v2, v39
	v_fmac_f32_e32 v0, v2, v38
	v_fma_f32 v1, v3, v38, -v1
	s_waitcnt vmcnt(2)
	v_mul_f32_e32 v2, v41, v43
	v_mul_f32_e32 v3, v40, v43
	v_fmac_f32_e32 v2, v40, v42
	v_fma_f32 v3, v41, v42, -v3
	ds_write2_b64 v108, v[0:1], v[2:3] offset0:131 offset1:146
	s_waitcnt vmcnt(0)
	v_mul_f32_e32 v0, v47, v45
	v_mul_f32_e32 v1, v46, v45
	v_fmac_f32_e32 v0, v46, v44
	v_fma_f32 v1, v47, v44, -v1
	ds_write_b64 v108, v[0:1] offset:1288
.LBB0_3:
	s_or_b64 exec, exec, s[2:3]
	s_waitcnt lgkmcnt(0)
	; wave barrier
	s_waitcnt lgkmcnt(0)
	ds_read2_b64 v[36:39], v108 offset1:15
	ds_read2_b64 v[12:15], v108 offset0:30 offset1:45
	ds_read2_b64 v[0:3], v108 offset0:60 offset1:75
	;; [unrolled: 1-line block ×4, first 2 shown]
	ds_read_b64 v[44:45], v108 offset:1200
	s_load_dwordx2 s[2:3], s[4:5], 0x8
	v_mov_b32_e32 v8, 0
	v_mov_b32_e32 v9, 0
                                        ; implicit-def: $vgpr16
                                        ; implicit-def: $vgpr28
                                        ; implicit-def: $vgpr40
                                        ; implicit-def: $vgpr26
                                        ; implicit-def: $vgpr22
	s_and_saveexec_b64 s[0:1], vcc
	s_cbranch_execz .LBB0_5
; %bb.4:
	ds_read2_b64 v[8:11], v108 offset0:11 offset1:26
	ds_read2_b64 v[20:23], v108 offset0:41 offset1:56
	;; [unrolled: 1-line block ×5, first 2 shown]
	ds_read_b64 v[40:41], v108 offset:1288
.LBB0_5:
	s_or_b64 exec, exec, s[0:1]
	s_waitcnt lgkmcnt(0)
	v_add_f32_e32 v42, v36, v38
	v_add_f32_e32 v43, v37, v39
	;; [unrolled: 1-line block ×19, first 2 shown]
	v_sub_f32_e32 v38, v38, v44
	v_sub_f32_e32 v39, v39, v45
	v_add_f32_e32 v43, v43, v35
	v_add_f32_e32 v42, v42, v44
	v_mul_f32_e32 v44, 0xbf0a6770, v39
	s_mov_b32 s0, 0x3f575c64
	v_mul_f32_e32 v48, 0xbf0a6770, v38
	v_mul_f32_e32 v50, 0xbf68dda4, v39
	s_mov_b32 s1, 0x3ed4b147
	v_mul_f32_e32 v52, 0xbf68dda4, v38
	v_mul_f32_e32 v54, 0xbf7d64f0, v39
	s_mov_b32 s4, 0xbe11bafb
	v_mul_f32_e32 v56, 0xbf7d64f0, v38
	v_mul_f32_e32 v59, 0xbf4178ce, v39
	s_mov_b32 s5, 0xbf27a4f4
	v_mul_f32_e32 v61, 0xbf4178ce, v38
	v_mul_f32_e32 v39, 0xbe903f40, v39
	s_mov_b32 s12, 0xbf75a155
	v_mul_f32_e32 v38, 0xbe903f40, v38
	v_add_f32_e32 v43, v43, v45
	v_fma_f32 v45, v46, s0, -v44
	v_mov_b32_e32 v49, v48
	v_fmac_f32_e32 v44, 0x3f575c64, v46
	v_fma_f32 v51, v46, s1, -v50
	v_mov_b32_e32 v53, v52
	v_fmac_f32_e32 v50, 0x3ed4b147, v46
	;; [unrolled: 3-line block ×5, first 2 shown]
	v_add_f32_e32 v45, v36, v45
	v_fmac_f32_e32 v49, 0x3f575c64, v47
	v_add_f32_e32 v44, v36, v44
	v_fma_f32 v48, v47, s0, -v48
	v_add_f32_e32 v51, v36, v51
	v_fmac_f32_e32 v53, 0x3ed4b147, v47
	v_add_f32_e32 v50, v36, v50
	v_fma_f32 v52, v47, s1, -v52
	;; [unrolled: 4-line block ×5, first 2 shown]
	v_add_f32_e32 v39, v35, v13
	v_sub_f32_e32 v13, v13, v35
	v_add_f32_e32 v49, v37, v49
	v_add_f32_e32 v48, v37, v48
	;; [unrolled: 1-line block ×11, first 2 shown]
	v_sub_f32_e32 v12, v12, v34
	v_mul_f32_e32 v34, 0xbf68dda4, v13
	v_fma_f32 v35, v38, s1, -v34
	v_add_f32_e32 v35, v35, v45
	v_mul_f32_e32 v45, 0xbf68dda4, v12
	v_fmac_f32_e32 v34, 0x3ed4b147, v38
	v_mov_b32_e32 v46, v45
	v_add_f32_e32 v34, v34, v44
	v_fma_f32 v44, v39, s1, -v45
	v_mul_f32_e32 v45, 0xbf4178ce, v13
	v_fmac_f32_e32 v46, 0x3ed4b147, v39
	v_add_f32_e32 v44, v44, v48
	v_fma_f32 v47, v38, s5, -v45
	v_mul_f32_e32 v48, 0xbf4178ce, v12
	v_fmac_f32_e32 v45, 0xbf27a4f4, v38
	v_add_f32_e32 v46, v46, v49
	v_mov_b32_e32 v49, v48
	v_add_f32_e32 v45, v45, v50
	v_fma_f32 v48, v39, s5, -v48
	v_mul_f32_e32 v50, 0x3e903f40, v13
	v_add_f32_e32 v47, v47, v51
	v_fmac_f32_e32 v49, 0xbf27a4f4, v39
	v_add_f32_e32 v48, v48, v52
	v_fma_f32 v51, v38, s12, -v50
	v_mul_f32_e32 v52, 0x3e903f40, v12
	v_fmac_f32_e32 v50, 0xbf75a155, v38
	v_add_f32_e32 v49, v49, v53
	v_mov_b32_e32 v53, v52
	v_add_f32_e32 v50, v50, v54
	v_fma_f32 v52, v39, s12, -v52
	v_mul_f32_e32 v54, 0x3f7d64f0, v13
	v_add_f32_e32 v51, v51, v55
	v_add_f32_e32 v52, v52, v56
	v_fma_f32 v55, v38, s4, -v54
	v_mul_f32_e32 v56, 0x3f7d64f0, v12
	v_mul_f32_e32 v12, 0x3f0a6770, v12
	v_add_f32_e32 v55, v55, v60
	v_fmac_f32_e32 v54, 0xbe11bafb, v38
	v_mul_f32_e32 v13, 0x3f0a6770, v13
	v_mov_b32_e32 v60, v12
	v_fma_f32 v12, v39, s0, -v12
	v_add_f32_e32 v54, v54, v59
	v_fma_f32 v59, v38, s0, -v13
	v_fmac_f32_e32 v13, 0x3f575c64, v38
	v_add_f32_e32 v12, v12, v37
	v_add_f32_e32 v37, v33, v15
	v_sub_f32_e32 v15, v15, v33
	v_add_f32_e32 v13, v13, v36
	v_add_f32_e32 v36, v32, v14
	v_sub_f32_e32 v14, v14, v32
	v_mul_f32_e32 v32, 0xbf7d64f0, v15
	v_fma_f32 v33, v36, s4, -v32
	v_fmac_f32_e32 v53, 0xbf75a155, v39
	v_add_f32_e32 v33, v33, v35
	v_mul_f32_e32 v35, 0xbf7d64f0, v14
	v_fmac_f32_e32 v32, 0xbe11bafb, v36
	v_add_f32_e32 v53, v53, v57
	v_mov_b32_e32 v57, v56
	v_mov_b32_e32 v38, v35
	v_add_f32_e32 v32, v32, v34
	v_fma_f32 v34, v37, s4, -v35
	v_mul_f32_e32 v35, 0x3e903f40, v15
	v_fmac_f32_e32 v57, 0xbe11bafb, v39
	v_fma_f32 v56, v39, s4, -v56
	v_fmac_f32_e32 v60, 0x3f575c64, v39
	v_fma_f32 v39, v36, s12, -v35
	v_fmac_f32_e32 v35, 0xbf75a155, v36
	v_fmac_f32_e32 v38, 0xbe11bafb, v37
	v_add_f32_e32 v34, v34, v44
	v_mul_f32_e32 v44, 0x3e903f40, v14
	v_add_f32_e32 v35, v35, v45
	v_mul_f32_e32 v45, 0x3f68dda4, v15
	v_add_f32_e32 v38, v38, v46
	v_add_f32_e32 v39, v39, v47
	v_mov_b32_e32 v46, v44
	v_fma_f32 v44, v37, s12, -v44
	v_fma_f32 v47, v36, s1, -v45
	v_fmac_f32_e32 v45, 0x3ed4b147, v36
	v_fmac_f32_e32 v46, 0xbf75a155, v37
	v_add_f32_e32 v44, v44, v48
	v_mul_f32_e32 v48, 0x3f68dda4, v14
	v_add_f32_e32 v45, v45, v50
	v_mul_f32_e32 v50, 0xbf0a6770, v15
	v_add_f32_e32 v46, v46, v49
	v_add_f32_e32 v47, v47, v51
	v_mov_b32_e32 v49, v48
	v_fma_f32 v48, v37, s1, -v48
	v_fma_f32 v51, v36, s0, -v50
	v_fmac_f32_e32 v50, 0x3f575c64, v36
	v_mul_f32_e32 v15, 0xbf4178ce, v15
	v_add_f32_e32 v48, v48, v52
	v_mul_f32_e32 v52, 0xbf0a6770, v14
	v_add_f32_e32 v50, v50, v54
	v_fma_f32 v54, v36, s5, -v15
	v_mul_f32_e32 v14, 0xbf4178ce, v14
	v_fmac_f32_e32 v15, 0xbf27a4f4, v36
	v_add_f32_e32 v51, v51, v55
	v_mov_b32_e32 v55, v14
	v_add_f32_e32 v13, v15, v13
	v_fma_f32 v14, v37, s5, -v14
	v_add_f32_e32 v15, v7, v1
	v_sub_f32_e32 v1, v1, v7
	v_add_f32_e32 v12, v14, v12
	v_add_f32_e32 v14, v6, v0
	v_sub_f32_e32 v0, v0, v6
	v_mul_f32_e32 v6, 0xbf4178ce, v1
	v_fma_f32 v7, v14, s5, -v6
	v_fmac_f32_e32 v49, 0x3ed4b147, v37
	v_add_f32_e32 v7, v7, v33
	v_mul_f32_e32 v33, 0xbf4178ce, v0
	v_fmac_f32_e32 v6, 0xbf27a4f4, v14
	v_add_f32_e32 v49, v49, v53
	v_mov_b32_e32 v53, v52
	v_mov_b32_e32 v36, v33
	v_add_f32_e32 v6, v6, v32
	v_fma_f32 v32, v15, s5, -v33
	v_mul_f32_e32 v33, 0x3f7d64f0, v1
	v_fmac_f32_e32 v53, 0x3f575c64, v37
	v_fma_f32 v52, v37, s0, -v52
	v_fmac_f32_e32 v55, 0xbf27a4f4, v37
	v_fmac_f32_e32 v36, 0xbf27a4f4, v15
	v_add_f32_e32 v32, v32, v34
	v_fma_f32 v34, v14, s4, -v33
	v_mul_f32_e32 v37, 0x3f7d64f0, v0
	v_fmac_f32_e32 v33, 0xbe11bafb, v14
	v_add_f32_e32 v36, v36, v38
	v_mov_b32_e32 v38, v37
	v_add_f32_e32 v33, v33, v35
	v_fma_f32 v35, v15, s4, -v37
	v_mul_f32_e32 v37, 0xbf0a6770, v1
	v_add_f32_e32 v34, v34, v39
	v_fmac_f32_e32 v38, 0xbe11bafb, v15
	v_add_f32_e32 v35, v35, v44
	v_fma_f32 v39, v14, s0, -v37
	v_mul_f32_e32 v44, 0xbf0a6770, v0
	v_fmac_f32_e32 v37, 0x3f575c64, v14
	v_add_f32_e32 v38, v38, v46
	v_mov_b32_e32 v46, v44
	v_add_f32_e32 v37, v37, v45
	v_fma_f32 v44, v15, s0, -v44
	v_mul_f32_e32 v45, 0xbe903f40, v1
	v_add_f32_e32 v57, v57, v62
	v_add_f32_e32 v59, v59, v63
	;; [unrolled: 1-line block ×3, first 2 shown]
	v_fmac_f32_e32 v46, 0x3f575c64, v15
	v_add_f32_e32 v44, v44, v48
	v_fma_f32 v47, v14, s12, -v45
	v_mul_f32_e32 v48, 0xbe903f40, v0
	v_fmac_f32_e32 v45, 0xbf75a155, v14
	v_mul_f32_e32 v1, 0x3f68dda4, v1
	v_mul_f32_e32 v0, 0x3f68dda4, v0
	v_add_f32_e32 v56, v56, v61
	v_add_f32_e32 v60, v60, v64
	;; [unrolled: 1-line block ×6, first 2 shown]
	v_mov_b32_e32 v49, v48
	v_add_f32_e32 v45, v45, v50
	v_fma_f32 v50, v14, s1, -v1
	v_mov_b32_e32 v51, v0
	v_sub_f32_e32 v57, v3, v5
	v_add_f32_e32 v52, v52, v56
	v_add_f32_e32 v55, v55, v60
	v_fmac_f32_e32 v49, 0xbf75a155, v15
	v_add_f32_e32 v50, v50, v54
	v_fmac_f32_e32 v51, 0x3ed4b147, v15
	v_fma_f32 v0, v15, s1, -v0
	v_add_f32_e32 v54, v4, v2
	v_sub_f32_e32 v56, v2, v4
	v_mul_f32_e32 v2, 0xbe903f40, v57
	v_add_f32_e32 v49, v49, v53
	v_add_f32_e32 v51, v51, v55
	;; [unrolled: 1-line block ×4, first 2 shown]
	v_fma_f32 v0, v54, s12, -v2
	v_mul_f32_e32 v3, 0xbe903f40, v56
	v_fmac_f32_e32 v2, 0xbf75a155, v54
	v_add_f32_e32 v76, v2, v6
	v_fma_f32 v2, v55, s12, -v3
	v_mul_f32_e32 v4, 0x3f0a6770, v57
	v_add_f32_e32 v77, v2, v32
	v_fma_f32 v2, v54, s0, -v4
	v_fmac_f32_e32 v4, 0x3f575c64, v54
	v_mul_f32_e32 v32, 0x3f68dda4, v57
	v_fma_f32 v48, v15, s12, -v48
	v_fmac_f32_e32 v1, 0x3ed4b147, v14
	v_add_f32_e32 v4, v4, v33
	v_fma_f32 v14, v54, s1, -v32
	v_mul_f32_e32 v33, 0x3f68dda4, v56
	v_fmac_f32_e32 v32, 0x3ed4b147, v54
	v_add_f32_e32 v48, v48, v52
	v_add_f32_e32 v66, v32, v45
	v_fma_f32 v32, v55, s1, -v33
	v_add_f32_e32 v67, v32, v48
	v_mul_f32_e32 v32, 0xbf7d64f0, v57
	v_mov_b32_e32 v15, v33
	v_fma_f32 v33, v54, s4, -v32
	v_add_f32_e32 v52, v1, v13
	v_mul_f32_e32 v5, 0x3f0a6770, v56
	v_mul_f32_e32 v13, 0xbf4178ce, v56
	v_add_f32_e32 v68, v33, v50
	v_mul_f32_e32 v33, 0xbf7d64f0, v56
	v_fmac_f32_e32 v32, 0xbe11bafb, v54
	v_sub_f32_e32 v105, v11, v41
	v_add_f32_e32 v0, v0, v7
	v_mov_b32_e32 v1, v3
	v_add_f32_e32 v2, v2, v34
	v_mov_b32_e32 v3, v5
	v_fma_f32 v5, v55, s0, -v5
	v_mov_b32_e32 v7, v13
	v_fma_f32 v13, v55, s5, -v13
	v_mov_b32_e32 v34, v33
	v_add_f32_e32 v70, v32, v52
	v_fma_f32 v32, v55, s4, -v33
	v_mul_f32_e32 v33, 0xbf0a6770, v105
	v_add_f32_e32 v5, v5, v35
	v_add_f32_e32 v13, v13, v44
	v_fmac_f32_e32 v34, 0xbe11bafb, v55
	v_add_f32_e32 v71, v32, v53
	v_add_f32_e32 v44, v40, v10
	v_sub_f32_e32 v32, v10, v40
	v_mov_b32_e32 v35, v33
	v_fmac_f32_e32 v7, 0xbf27a4f4, v55
	v_add_f32_e32 v69, v34, v51
	v_add_f32_e32 v45, v41, v11
	v_mul_f32_e32 v34, 0xbf0a6770, v32
	v_fmac_f32_e32 v35, 0x3f575c64, v44
	v_mul_f32_e32 v12, 0xbf4178ce, v57
	v_add_f32_e32 v7, v7, v46
	v_add_f32_e32 v46, v35, v8
	v_fma_f32 v35, v45, s0, -v34
	v_fma_f32 v6, v54, s5, -v12
	v_fmac_f32_e32 v12, 0xbf27a4f4, v54
	v_add_f32_e32 v14, v14, v47
	v_add_f32_e32 v47, v35, v9
	v_mul_f32_e32 v35, 0xbf68dda4, v105
	v_fmac_f32_e32 v1, 0xbf75a155, v55
	v_add_f32_e32 v12, v12, v37
	v_mov_b32_e32 v37, v35
	v_add_f32_e32 v1, v1, v36
	v_fmac_f32_e32 v3, 0x3f575c64, v55
	v_mul_f32_e32 v36, 0xbf68dda4, v32
	v_fmac_f32_e32 v37, 0x3ed4b147, v44
	v_add_f32_e32 v3, v3, v38
	v_fmac_f32_e32 v15, 0x3ed4b147, v55
	v_add_f32_e32 v48, v37, v8
	v_fma_f32 v37, v45, s1, -v36
	v_mul_f32_e32 v38, 0xbf7d64f0, v105
	v_add_f32_e32 v15, v15, v49
	v_add_f32_e32 v49, v37, v9
	v_mov_b32_e32 v37, v38
	v_fmac_f32_e32 v37, 0xbe11bafb, v44
	v_sub_f32_e32 v111, v21, v31
	v_add_f32_e32 v50, v37, v8
	v_mul_f32_e32 v37, 0xbf68dda4, v111
	v_add_f32_e32 v51, v30, v20
	v_sub_f32_e32 v106, v20, v30
	v_mov_b32_e32 v53, v37
	v_add_f32_e32 v6, v6, v39
	v_add_f32_e32 v52, v31, v21
	v_mul_f32_e32 v39, 0xbf68dda4, v106
	v_fmac_f32_e32 v53, 0x3ed4b147, v51
	v_add_f32_e32 v53, v53, v46
	v_fma_f32 v46, v52, s1, -v39
	v_add_f32_e32 v54, v46, v47
	v_mul_f32_e32 v46, 0xbf4178ce, v111
	v_mov_b32_e32 v55, v46
	v_mul_f32_e32 v47, 0xbf4178ce, v106
	v_fmac_f32_e32 v55, 0xbf27a4f4, v51
	v_add_f32_e32 v55, v55, v48
	v_fma_f32 v48, v52, s5, -v47
	v_add_f32_e32 v59, v48, v49
	v_mul_f32_e32 v49, 0x3e903f40, v111
	v_mov_b32_e32 v48, v49
	v_fmac_f32_e32 v48, 0xbf75a155, v51
	v_sub_f32_e32 v114, v23, v29
	v_add_f32_e32 v60, v48, v50
	v_mul_f32_e32 v48, 0xbf7d64f0, v114
	v_add_f32_e32 v56, v28, v22
	v_sub_f32_e32 v112, v22, v28
	v_mov_b32_e32 v61, v48
	v_add_f32_e32 v57, v29, v23
	v_mul_f32_e32 v50, 0xbf7d64f0, v112
	v_fmac_f32_e32 v61, 0xbe11bafb, v56
	v_add_f32_e32 v61, v61, v53
	v_fma_f32 v53, v57, s4, -v50
	v_add_f32_e32 v62, v53, v54
	v_mul_f32_e32 v53, 0x3e903f40, v114
	v_mov_b32_e32 v63, v53
	v_mul_f32_e32 v54, 0x3e903f40, v112
	v_fmac_f32_e32 v63, 0xbf75a155, v56
	v_add_f32_e32 v63, v63, v55
	v_fma_f32 v55, v57, s12, -v54
	v_add_f32_e32 v64, v55, v59
	v_mul_f32_e32 v55, 0x3f68dda4, v114
	v_mov_b32_e32 v59, v55
	v_fmac_f32_e32 v59, 0x3ed4b147, v56
	v_add_f32_e32 v72, v59, v60
	v_mul_lo_u16_e32 v60, 11, v107
	v_lshl_add_u32 v113, v60, 3, v110
	v_sub_f32_e32 v116, v25, v19
	s_waitcnt lgkmcnt(0)
	; wave barrier
	ds_write2_b64 v113, v[42:43], v[0:1] offset1:1
	v_sub_f32_e32 v115, v24, v18
	v_mul_f32_e32 v42, 0xbf4178ce, v116
	v_add_f32_e32 v59, v18, v24
	v_add_f32_e32 v65, v19, v25
	v_mul_f32_e32 v43, 0xbf4178ce, v115
	v_mov_b32_e32 v0, v42
	v_fmac_f32_e32 v0, 0xbf27a4f4, v59
	v_fma_f32 v1, v65, s5, -v43
	v_mul_f32_e32 v60, 0x3f7d64f0, v116
	v_sub_f32_e32 v117, v27, v17
	ds_write2_b64 v113, v[2:3], v[6:7] offset0:2 offset1:3
	v_add_f32_e32 v0, v0, v61
	v_add_f32_e32 v1, v1, v62
	v_mul_f32_e32 v62, 0x3f7d64f0, v115
	v_mov_b32_e32 v2, v60
	v_mul_f32_e32 v61, 0xbe903f40, v117
	v_fmac_f32_e32 v2, 0xbe11bafb, v59
	v_fma_f32 v3, v65, s4, -v62
	ds_write2_b64 v113, v[14:15], v[68:69] offset0:4 offset1:5
	v_add_f32_e32 v68, v16, v26
	v_sub_f32_e32 v7, v26, v16
	v_mov_b32_e32 v14, v61
	v_add_f32_e32 v2, v2, v63
	v_add_f32_e32 v3, v3, v64
	v_mul_f32_e32 v64, 0xbf0a6770, v116
	v_add_f32_e32 v69, v17, v27
	v_mul_f32_e32 v63, 0xbe903f40, v7
	v_fmac_f32_e32 v14, 0xbf75a155, v68
	v_mov_b32_e32 v6, v64
	ds_write2_b64 v113, v[70:71], v[66:67] offset0:6 offset1:7
	v_add_f32_e32 v103, v14, v0
	v_fma_f32 v0, v69, s12, -v63
	v_mul_f32_e32 v66, 0x3f0a6770, v117
	v_fmac_f32_e32 v6, 0x3f575c64, v59
	v_add_f32_e32 v104, v0, v1
	v_mov_b32_e32 v0, v66
	v_mul_f32_e32 v71, 0xbf7d64f0, v32
	v_add_f32_e32 v6, v6, v72
	v_mul_f32_e32 v67, 0x3f0a6770, v7
	v_fmac_f32_e32 v0, 0x3f575c64, v68
	v_fma_f32 v1, v45, s4, -v71
	v_mul_f32_e32 v72, 0x3e903f40, v106
	ds_write2_b64 v113, v[12:13], v[4:5] offset0:8 offset1:9
	v_add_f32_e32 v2, v0, v2
	v_fma_f32 v0, v69, s0, -v67
	v_mul_f32_e32 v70, 0xbf4178ce, v117
	v_add_f32_e32 v1, v1, v9
	v_fma_f32 v4, v52, s12, -v72
	v_mul_f32_e32 v73, 0x3f68dda4, v112
	v_add_f32_e32 v3, v0, v3
	v_mov_b32_e32 v0, v70
	v_add_f32_e32 v1, v4, v1
	v_fma_f32 v4, v57, s1, -v73
	v_mul_f32_e32 v74, 0xbf0a6770, v115
	v_fmac_f32_e32 v0, 0xbf27a4f4, v68
	v_add_f32_e32 v1, v4, v1
	v_fma_f32 v4, v65, s0, -v74
	v_mul_f32_e32 v75, 0xbf4178ce, v7
	v_add_f32_e32 v0, v0, v6
	v_add_f32_e32 v1, v4, v1
	v_fma_f32 v4, v69, s5, -v75
	v_mul_f32_e32 v6, 0xbf4178ce, v105
	v_add_f32_e32 v1, v4, v1
	v_fma_f32 v4, v44, s5, -v6
	v_mul_f32_e32 v12, 0x3f7d64f0, v111
	;; [unrolled: 3-line block ×3, first 2 shown]
	v_add_f32_e32 v4, v5, v4
	v_mov_b32_e32 v5, v13
	v_mul_f32_e32 v14, 0x3f7d64f0, v106
	v_fmac_f32_e32 v5, 0xbf27a4f4, v45
	v_mov_b32_e32 v15, v14
	v_add_f32_e32 v5, v5, v9
	v_fmac_f32_e32 v15, 0xbe11bafb, v52
	v_add_f32_e32 v5, v15, v5
	v_mul_f32_e32 v15, 0xbf0a6770, v114
	v_fma_f32 v118, v56, s0, -v15
	v_add_f32_e32 v4, v118, v4
	v_mul_f32_e32 v118, 0xbf0a6770, v112
	v_mov_b32_e32 v119, v118
	v_fmac_f32_e32 v119, 0x3f575c64, v57
	v_add_f32_e32 v5, v119, v5
	v_mul_f32_e32 v119, 0xbe903f40, v116
	v_fmac_f32_e32 v6, 0xbf27a4f4, v44
	v_fma_f32 v120, v59, s12, -v119
	v_add_f32_e32 v6, v6, v8
	v_fmac_f32_e32 v12, 0xbe11bafb, v51
	v_add_f32_e32 v4, v120, v4
	v_mul_f32_e32 v120, 0xbe903f40, v115
	v_add_f32_e32 v6, v12, v6
	v_fma_f32 v12, v45, s5, -v13
	v_mov_b32_e32 v121, v120
	v_add_f32_e32 v12, v12, v9
	v_fma_f32 v13, v52, s4, -v14
	v_fmac_f32_e32 v121, 0xbf75a155, v65
	v_add_f32_e32 v12, v13, v12
	v_fma_f32 v13, v57, s0, -v118
	v_add_f32_e32 v5, v121, v5
	v_mul_f32_e32 v121, 0x3f68dda4, v7
	v_fmac_f32_e32 v15, 0x3f575c64, v56
	v_add_f32_e32 v12, v13, v12
	v_fma_f32 v13, v65, s12, -v120
	v_mul_f32_e32 v123, 0x3f68dda4, v117
	v_add_f32_e32 v6, v15, v6
	v_fmac_f32_e32 v119, 0xbf75a155, v59
	v_add_f32_e32 v12, v13, v12
	v_fma_f32 v13, v69, s1, -v121
	v_fma_f32 v124, v68, s1, -v123
	v_add_f32_e32 v6, v119, v6
	v_fmac_f32_e32 v123, 0x3ed4b147, v68
	v_add_f32_e32 v15, v13, v12
	v_mul_f32_e32 v12, 0xbe903f40, v105
	v_add_f32_e32 v14, v123, v6
	v_fma_f32 v6, v44, s12, -v12
	v_mul_f32_e32 v13, 0x3f0a6770, v111
	v_add_f32_e32 v6, v6, v8
	v_fma_f32 v105, v51, s0, -v13
	v_add_f32_e32 v6, v105, v6
	v_mul_f32_e32 v105, 0xbf4178ce, v114
	v_fma_f32 v111, v56, s5, -v105
	v_add_f32_e32 v6, v111, v6
	v_mul_f32_e32 v111, 0x3f68dda4, v116
	;; [unrolled: 3-line block ×3, first 2 shown]
	v_fma_f32 v116, v68, s4, -v114
	v_mul_f32_e32 v32, 0xbe903f40, v32
	v_add_f32_e32 v6, v116, v6
	v_mov_b32_e32 v116, v32
	v_mul_f32_e32 v106, 0x3f0a6770, v106
	v_fmac_f32_e32 v116, 0xbf75a155, v45
	v_mov_b32_e32 v117, v106
	v_add_f32_e32 v116, v116, v9
	v_fmac_f32_e32 v117, 0x3f575c64, v52
	v_mul_f32_e32 v112, 0xbf4178ce, v112
	v_fmac_f32_e32 v12, 0xbf75a155, v44
	v_add_f32_e32 v116, v117, v116
	v_mov_b32_e32 v117, v112
	v_add_f32_e32 v12, v12, v8
	v_fmac_f32_e32 v13, 0x3f575c64, v51
	v_fmac_f32_e32 v117, 0xbf27a4f4, v57
	v_mul_f32_e32 v115, 0x3f68dda4, v115
	v_add_f32_e32 v12, v13, v12
	v_fma_f32 v13, v45, s12, -v32
	v_add_f32_e32 v116, v117, v116
	v_mov_b32_e32 v117, v115
	v_add_f32_e32 v13, v13, v9
	v_fma_f32 v32, v52, s0, -v106
	v_fmac_f32_e32 v117, 0x3ed4b147, v65
	v_add_f32_e32 v13, v32, v13
	v_fma_f32 v32, v57, s5, -v112
	v_add_f32_e32 v116, v117, v116
	v_mul_f32_e32 v117, 0xbf7d64f0, v7
	v_fmac_f32_e32 v105, 0xbf27a4f4, v56
	v_add_f32_e32 v13, v32, v13
	v_fma_f32 v32, v65, s1, -v115
	v_mov_b32_e32 v122, v121
	v_mov_b32_e32 v7, v117
	v_add_f32_e32 v12, v105, v12
	v_fmac_f32_e32 v111, 0x3ed4b147, v59
	v_add_f32_e32 v13, v32, v13
	v_fma_f32 v32, v69, s4, -v117
	v_fmac_f32_e32 v122, 0x3ed4b147, v69
	v_fmac_f32_e32 v7, 0xbe11bafb, v69
	v_add_f32_e32 v12, v111, v12
	v_fmac_f32_e32 v114, 0xbe11bafb, v68
	v_add_f32_e32 v13, v32, v13
	v_add_co_u32_e64 v32, s[0:1], 11, v107
	v_add_f32_e32 v4, v124, v4
	v_add_f32_e32 v5, v122, v5
	v_add_f32_e32 v7, v7, v116
	v_add_f32_e32 v12, v114, v12
	v_mul_u32_u24_e32 v112, 11, v32
	ds_write_b64 v113, v[76:77] offset:80
	s_and_saveexec_b64 s[0:1], vcc
	s_cbranch_execz .LBB0_7
; %bb.6:
	v_mul_f32_e32 v76, 0x3f575c64, v44
	v_mul_f32_e32 v105, 0x3ed4b147, v44
	;; [unrolled: 1-line block ×6, first 2 shown]
	v_sub_f32_e32 v38, v44, v38
	v_mul_f32_e32 v117, 0xbe11bafb, v56
	v_mul_f32_e32 v119, 0xbf75a155, v56
	;; [unrolled: 1-line block ×3, first 2 shown]
	v_add_f32_e32 v38, v38, v8
	v_sub_f32_e32 v44, v51, v49
	v_mul_f32_e32 v121, 0xbf27a4f4, v59
	v_mul_f32_e32 v123, 0xbe11bafb, v59
	;; [unrolled: 1-line block ×3, first 2 shown]
	v_add_f32_e32 v38, v44, v38
	v_sub_f32_e32 v44, v56, v55
	v_mul_f32_e32 v106, 0x3ed4b147, v45
	v_mul_f32_e32 v125, 0xbf75a155, v68
	;; [unrolled: 1-line block ×4, first 2 shown]
	v_add_f32_e32 v38, v44, v38
	v_sub_f32_e32 v44, v59, v64
	v_mul_f32_e32 v116, 0xbf27a4f4, v52
	v_add_f32_e32 v38, v44, v38
	v_sub_f32_e32 v44, v68, v70
	v_add_f32_e32 v36, v36, v106
	v_mul_f32_e32 v120, 0xbf75a155, v57
	v_add_f32_e32 v44, v44, v38
	v_add_f32_e32 v36, v36, v9
	;; [unrolled: 1-line block ×3, first 2 shown]
	v_mul_f32_e32 v77, 0x3f575c64, v45
	v_mul_f32_e32 v45, 0xbe11bafb, v45
	;; [unrolled: 1-line block ×3, first 2 shown]
	v_add_f32_e32 v36, v38, v36
	v_add_f32_e32 v38, v54, v120
	v_mul_f32_e32 v128, 0x3f575c64, v69
	v_add_f32_e32 v45, v71, v45
	v_add_f32_e32 v36, v38, v36
	v_add_f32_e32 v38, v62, v124
	v_sub_f32_e32 v35, v105, v35
	v_add_f32_e32 v34, v34, v77
	v_sub_f32_e32 v33, v76, v33
	v_add_f32_e32 v45, v45, v9
	v_add_f32_e32 v36, v38, v36
	;; [unrolled: 1-line block ×9, first 2 shown]
	v_sub_f32_e32 v38, v115, v46
	v_add_f32_e32 v9, v21, v9
	v_add_f32_e32 v8, v20, v8
	;; [unrolled: 1-line block ×3, first 2 shown]
	v_sub_f32_e32 v38, v119, v53
	v_add_f32_e32 v9, v23, v9
	v_add_f32_e32 v8, v22, v8
	;; [unrolled: 1-line block ×3, first 2 shown]
	v_sub_f32_e32 v38, v123, v60
	v_add_f32_e32 v9, v25, v9
	v_add_f32_e32 v8, v24, v8
	v_mul_f32_e32 v114, 0x3ed4b147, v52
	v_add_f32_e32 v35, v38, v35
	v_sub_f32_e32 v38, v127, v66
	v_add_f32_e32 v9, v27, v9
	v_add_f32_e32 v8, v26, v8
	v_mul_f32_e32 v52, 0xbf75a155, v52
	v_mul_f32_e32 v118, 0xbe11bafb, v57
	v_add_f32_e32 v35, v38, v35
	v_add_f32_e32 v38, v39, v114
	v_sub_f32_e32 v37, v111, v37
	v_add_f32_e32 v9, v17, v9
	v_add_f32_e32 v8, v16, v8
	v_mul_f32_e32 v57, 0x3ed4b147, v57
	v_mul_f32_e32 v122, 0xbf27a4f4, v65
	v_add_f32_e32 v52, v72, v52
	v_add_f32_e32 v34, v38, v34
	;; [unrolled: 1-line block ×4, first 2 shown]
	v_sub_f32_e32 v37, v117, v48
	v_add_f32_e32 v9, v19, v9
	v_add_f32_e32 v8, v18, v8
	v_mul_f32_e32 v65, 0x3f575c64, v65
	v_mul_f32_e32 v126, 0xbf75a155, v69
	v_add_f32_e32 v45, v52, v45
	v_add_f32_e32 v52, v73, v57
	;; [unrolled: 1-line block ×5, first 2 shown]
	v_sub_f32_e32 v37, v121, v42
	v_add_f32_e32 v9, v29, v9
	v_add_f32_e32 v8, v28, v8
	v_mul_f32_e32 v69, 0xbf27a4f4, v69
	v_add_f32_e32 v45, v52, v45
	v_add_f32_e32 v52, v74, v65
	;; [unrolled: 1-line block ×5, first 2 shown]
	v_sub_f32_e32 v37, v125, v61
	v_add_f32_e32 v9, v31, v9
	v_add_f32_e32 v8, v30, v8
	;; [unrolled: 1-line block ×8, first 2 shown]
	v_lshl_add_u32 v10, v112, 3, v110
	v_add_f32_e32 v45, v52, v45
	ds_write2_b64 v10, v[8:9], v[33:34] offset1:1
	ds_write2_b64 v10, v[35:36], v[44:45] offset0:2 offset1:3
	ds_write2_b64 v10, v[4:5], v[6:7] offset0:4 offset1:5
	ds_write2_b64 v10, v[12:13], v[14:15] offset0:6 offset1:7
	ds_write2_b64 v10, v[0:1], v[2:3] offset0:8 offset1:9
	ds_write_b64 v10, v[103:104] offset:80
.LBB0_7:
	s_or_b64 exec, exec, s[0:1]
	v_add_co_u32_e64 v61, s[0:1], 22, v107
	s_movk_i32 s0, 0x75
	v_mul_lo_u16_sdwa v20, v61, s0 dst_sel:DWORD dst_unused:UNUSED_PAD src0_sel:BYTE_0 src1_sel:DWORD
	v_sub_u16_sdwa v21, v61, v20 dst_sel:DWORD dst_unused:UNUSED_PAD src0_sel:DWORD src1_sel:BYTE_1
	v_lshrrev_b16_e32 v21, 1, v21
	v_and_b32_e32 v21, 0x7f, v21
	v_add_u16_sdwa v20, v21, v20 dst_sel:DWORD dst_unused:UNUSED_PAD src0_sel:DWORD src1_sel:BYTE_1
	v_lshlrev_b32_e32 v57, 5, v107
	v_lshrrev_b16_e32 v20, 3, v20
	s_waitcnt lgkmcnt(0)
	; wave barrier
	s_waitcnt lgkmcnt(0)
	global_load_dwordx4 v[16:19], v57, s[2:3]
	global_load_dwordx4 v[8:11], v57, s[2:3] offset:16
	v_mul_lo_u16_e32 v20, 11, v20
	v_sub_u16_e32 v62, v61, v20
	v_lshlrev_b16_e32 v20, 2, v62
	v_and_b32_e32 v20, 0xfc, v20
	v_lshlrev_b32_e32 v28, 3, v20
	global_load_dwordx4 v[24:27], v28, s[2:3]
	global_load_dwordx4 v[20:23], v28, s[2:3] offset:16
	ds_read2_b64 v[28:31], v108 offset1:11
	ds_read2_b64 v[33:36], v108 offset0:22 offset1:33
	ds_read2_b64 v[37:40], v108 offset0:66 offset1:77
	ds_read2_b64 v[41:44], v108 offset0:88 offset1:99
	ds_read2_b64 v[45:48], v108 offset0:132 offset1:143
	ds_read2_b64 v[49:52], v108 offset0:44 offset1:55
	ds_read2_b64 v[53:56], v108 offset0:110 offset1:121
	ds_read_b64 v[59:60], v108 offset:1232
	v_mov_b32_e32 v64, s3
	v_add_co_u32_e64 v57, s[0:1], s2, v57
	v_lshlrev_b32_e32 v63, 4, v107
	v_addc_co_u32_e64 v64, s[0:1], 0, v64, s[0:1]
	s_waitcnt lgkmcnt(0)
	; wave barrier
	s_waitcnt lgkmcnt(0)
	v_lshlrev_b32_e32 v32, 4, v32
	s_waitcnt vmcnt(3)
	v_mul_f32_e32 v65, v36, v17
	v_mul_f32_e32 v67, v38, v19
	s_waitcnt vmcnt(2)
	v_mul_f32_e32 v69, v44, v9
	v_fma_f32 v65, v35, v16, -v65
	v_mul_f32_e32 v66, v35, v17
	v_mul_f32_e32 v70, v43, v9
	v_fma_f32 v67, v37, v18, -v67
	v_fma_f32 v43, v43, v8, -v69
	v_add_f32_e32 v35, v28, v65
	v_mul_f32_e32 v68, v37, v19
	v_mul_f32_e32 v71, v46, v11
	;; [unrolled: 1-line block ×3, first 2 shown]
	v_fmac_f32_e32 v66, v36, v16
	v_add_f32_e32 v36, v67, v43
	v_add_f32_e32 v37, v35, v67
	v_mul_f32_e32 v74, v49, v17
	v_mul_f32_e32 v75, v40, v19
	;; [unrolled: 1-line block ×3, first 2 shown]
	v_fmac_f32_e32 v68, v38, v18
	v_fma_f32 v38, v45, v10, -v71
	v_fmac_f32_e32 v72, v46, v10
	v_fma_f32 v35, -0.5, v36, v28
	v_add_f32_e32 v36, v37, v43
	v_mul_f32_e32 v73, v50, v17
	v_mul_f32_e32 v105, v53, v9
	;; [unrolled: 1-line block ×3, first 2 shown]
	v_fmac_f32_e32 v70, v44, v8
	v_fmac_f32_e32 v74, v50, v16
	v_fma_f32 v50, v39, v18, -v75
	v_fmac_f32_e32 v76, v40, v18
	v_sub_f32_e32 v40, v66, v72
	v_mov_b32_e32 v37, v35
	v_add_f32_e32 v39, v36, v38
	s_waitcnt vmcnt(1)
	v_mul_f32_e32 v36, v52, v25
	v_mul_f32_e32 v45, v42, v27
	;; [unrolled: 1-line block ×3, first 2 shown]
	v_fma_f32 v69, v49, v16, -v73
	v_fmac_f32_e32 v105, v54, v8
	v_fma_f32 v54, v47, v10, -v106
	v_sub_f32_e32 v44, v68, v70
	v_fmac_f32_e32 v37, 0x3f737871, v40
	v_mul_f32_e32 v73, v41, v27
	v_fma_f32 v106, v51, v24, -v36
	v_fma_f32 v114, v41, v26, -v45
	v_sub_f32_e32 v36, v65, v67
	v_sub_f32_e32 v41, v38, v43
	v_fmac_f32_e32 v35, 0xbf737871, v40
	v_fmac_f32_e32 v37, 0x3f167918, v44
	v_add_f32_e32 v36, v36, v41
	v_fmac_f32_e32 v35, 0xbf167918, v44
	v_fmac_f32_e32 v37, 0x3e9e377a, v36
	;; [unrolled: 1-line block ×3, first 2 shown]
	v_add_f32_e32 v36, v65, v38
	v_fma_f32 v28, -0.5, v36, v28
	v_mov_b32_e32 v41, v28
	v_fmac_f32_e32 v73, v42, v26
	v_fmac_f32_e32 v41, 0xbf737871, v44
	v_sub_f32_e32 v36, v67, v65
	v_sub_f32_e32 v42, v43, v38
	v_fmac_f32_e32 v28, 0x3f737871, v44
	v_fmac_f32_e32 v41, 0x3f167918, v40
	v_add_f32_e32 v36, v36, v42
	v_fmac_f32_e32 v28, 0xbf167918, v40
	v_fmac_f32_e32 v41, 0x3e9e377a, v36
	;; [unrolled: 1-line block ×3, first 2 shown]
	v_add_f32_e32 v36, v29, v66
	v_add_f32_e32 v36, v36, v68
	;; [unrolled: 1-line block ×5, first 2 shown]
	v_fma_f32 v36, -0.5, v36, v29
	v_sub_f32_e32 v44, v65, v38
	v_mov_b32_e32 v38, v36
	v_fmac_f32_e32 v38, 0xbf737871, v44
	v_sub_f32_e32 v43, v67, v43
	v_sub_f32_e32 v42, v66, v68
	;; [unrolled: 1-line block ×3, first 2 shown]
	v_fmac_f32_e32 v36, 0x3f737871, v44
	v_fmac_f32_e32 v38, 0xbf167918, v43
	v_add_f32_e32 v42, v42, v45
	v_fmac_f32_e32 v36, 0x3f167918, v43
	v_fmac_f32_e32 v38, 0x3e9e377a, v42
	v_fmac_f32_e32 v36, 0x3e9e377a, v42
	v_add_f32_e32 v42, v66, v72
	v_fma_f32 v29, -0.5, v42, v29
	s_waitcnt vmcnt(0)
	v_mul_f32_e32 v46, v56, v21
	v_mov_b32_e32 v42, v29
	v_fma_f32 v53, v53, v8, -v77
	v_fma_f32 v115, v55, v20, -v46
	v_fmac_f32_e32 v42, 0x3f737871, v43
	v_sub_f32_e32 v45, v68, v66
	v_sub_f32_e32 v46, v70, v72
	v_fmac_f32_e32 v29, 0xbf737871, v43
	v_mul_f32_e32 v111, v47, v11
	v_fmac_f32_e32 v42, 0xbf167918, v44
	v_add_f32_e32 v45, v45, v46
	v_fmac_f32_e32 v29, 0x3f167918, v44
	v_add_f32_e32 v44, v50, v53
	v_fmac_f32_e32 v111, v48, v10
	v_mul_f32_e32 v75, v55, v21
	v_mul_f32_e32 v47, v60, v23
	v_fmac_f32_e32 v42, 0x3e9e377a, v45
	v_fmac_f32_e32 v29, 0x3e9e377a, v45
	v_fma_f32 v45, -0.5, v44, v30
	v_fmac_f32_e32 v75, v56, v20
	v_fma_f32 v56, v59, v22, -v47
	v_sub_f32_e32 v44, v74, v111
	v_mov_b32_e32 v47, v45
	v_fmac_f32_e32 v47, 0x3f737871, v44
	v_sub_f32_e32 v46, v76, v105
	v_sub_f32_e32 v48, v69, v50
	v_sub_f32_e32 v49, v54, v53
	v_fmac_f32_e32 v45, 0xbf737871, v44
	v_fmac_f32_e32 v47, 0x3f167918, v46
	v_add_f32_e32 v48, v48, v49
	v_fmac_f32_e32 v45, 0xbf167918, v46
	v_fmac_f32_e32 v47, 0x3e9e377a, v48
	;; [unrolled: 1-line block ×3, first 2 shown]
	v_add_f32_e32 v48, v69, v54
	v_add_f32_e32 v43, v30, v69
	v_fma_f32 v30, -0.5, v48, v30
	v_mov_b32_e32 v49, v30
	v_mul_f32_e32 v71, v51, v25
	v_fmac_f32_e32 v49, 0xbf737871, v46
	v_sub_f32_e32 v48, v50, v69
	v_sub_f32_e32 v51, v53, v54
	v_fmac_f32_e32 v30, 0x3f737871, v46
	v_add_f32_e32 v46, v76, v105
	v_fmac_f32_e32 v49, 0x3f167918, v44
	v_add_f32_e32 v48, v48, v51
	v_fmac_f32_e32 v30, 0xbf167918, v44
	v_fma_f32 v46, -0.5, v46, v31
	v_add_f32_e32 v43, v43, v50
	v_fmac_f32_e32 v49, 0x3e9e377a, v48
	v_fmac_f32_e32 v30, 0x3e9e377a, v48
	v_sub_f32_e32 v51, v69, v54
	v_mov_b32_e32 v48, v46
	v_fmac_f32_e32 v71, v52, v24
	v_add_f32_e32 v43, v43, v53
	v_fmac_f32_e32 v48, 0xbf737871, v51
	v_sub_f32_e32 v52, v50, v53
	v_sub_f32_e32 v50, v74, v76
	;; [unrolled: 1-line block ×3, first 2 shown]
	v_fmac_f32_e32 v46, 0x3f737871, v51
	v_fmac_f32_e32 v48, 0xbf167918, v52
	v_add_f32_e32 v50, v50, v53
	v_fmac_f32_e32 v46, 0x3f167918, v52
	v_fmac_f32_e32 v48, 0x3e9e377a, v50
	;; [unrolled: 1-line block ×3, first 2 shown]
	v_add_f32_e32 v50, v74, v111
	v_add_f32_e32 v44, v31, v74
	v_fmac_f32_e32 v31, -0.5, v50
	v_mov_b32_e32 v50, v31
	v_add_f32_e32 v43, v43, v54
	v_fmac_f32_e32 v50, 0x3f737871, v52
	v_sub_f32_e32 v53, v76, v74
	v_sub_f32_e32 v54, v105, v111
	v_fmac_f32_e32 v31, 0xbf737871, v52
	v_mul_f32_e32 v77, v59, v23
	v_fmac_f32_e32 v50, 0xbf167918, v51
	v_add_f32_e32 v53, v53, v54
	v_fmac_f32_e32 v31, 0x3f167918, v51
	v_add_f32_e32 v52, v114, v115
	v_fmac_f32_e32 v77, v60, v22
	v_fmac_f32_e32 v50, 0x3e9e377a, v53
	;; [unrolled: 1-line block ×3, first 2 shown]
	v_fma_f32 v53, -0.5, v52, v33
	v_sub_f32_e32 v52, v71, v77
	v_mov_b32_e32 v55, v53
	v_fmac_f32_e32 v55, 0x3f737871, v52
	v_sub_f32_e32 v54, v73, v75
	v_sub_f32_e32 v59, v106, v114
	;; [unrolled: 1-line block ×3, first 2 shown]
	v_fmac_f32_e32 v53, 0xbf737871, v52
	v_fmac_f32_e32 v55, 0x3f167918, v54
	v_add_f32_e32 v59, v59, v60
	v_fmac_f32_e32 v53, 0xbf167918, v54
	v_fmac_f32_e32 v55, 0x3e9e377a, v59
	;; [unrolled: 1-line block ×3, first 2 shown]
	v_add_f32_e32 v59, v106, v56
	v_add_f32_e32 v51, v33, v106
	v_fma_f32 v33, -0.5, v59, v33
	v_mov_b32_e32 v59, v33
	v_add_f32_e32 v51, v51, v114
	v_fmac_f32_e32 v59, 0xbf737871, v54
	v_fmac_f32_e32 v33, 0x3f737871, v54
	v_add_f32_e32 v54, v73, v75
	v_add_f32_e32 v51, v51, v115
	v_sub_f32_e32 v60, v114, v106
	v_sub_f32_e32 v65, v115, v56
	v_fma_f32 v54, -0.5, v54, v34
	v_add_f32_e32 v51, v51, v56
	v_fmac_f32_e32 v59, 0x3f167918, v52
	v_add_f32_e32 v60, v60, v65
	v_fmac_f32_e32 v33, 0xbf167918, v52
	v_sub_f32_e32 v65, v106, v56
	v_mov_b32_e32 v56, v54
	v_fmac_f32_e32 v59, 0x3e9e377a, v60
	v_fmac_f32_e32 v33, 0x3e9e377a, v60
	;; [unrolled: 1-line block ×3, first 2 shown]
	v_sub_f32_e32 v66, v114, v115
	v_sub_f32_e32 v60, v71, v73
	;; [unrolled: 1-line block ×3, first 2 shown]
	v_fmac_f32_e32 v54, 0x3f737871, v65
	v_fmac_f32_e32 v56, 0xbf167918, v66
	v_add_f32_e32 v60, v60, v67
	v_fmac_f32_e32 v54, 0x3f167918, v66
	v_add_f32_e32 v44, v44, v76
	v_fmac_f32_e32 v56, 0x3e9e377a, v60
	v_fmac_f32_e32 v54, 0x3e9e377a, v60
	v_add_f32_e32 v60, v71, v77
	v_add_f32_e32 v44, v44, v105
	;; [unrolled: 1-line block ×3, first 2 shown]
	v_fmac_f32_e32 v34, -0.5, v60
	v_add_f32_e32 v44, v44, v111
	v_add_f32_e32 v52, v52, v73
	v_mov_b32_e32 v60, v34
	ds_write2_b64 v108, v[39:40], v[37:38] offset1:11
	ds_write2_b64 v108, v[41:42], v[28:29] offset0:22 offset1:33
	ds_write2_b64 v108, v[35:36], v[43:44] offset0:44 offset1:55
	;; [unrolled: 1-line block ×4, first 2 shown]
	v_and_b32_e32 v28, 0xff, v62
	v_add_f32_e32 v52, v52, v75
	v_fmac_f32_e32 v60, 0x3f737871, v66
	v_sub_f32_e32 v67, v73, v71
	v_sub_f32_e32 v68, v75, v77
	v_fmac_f32_e32 v34, 0xbf737871, v66
	v_lshl_add_u32 v114, v28, 3, v110
	v_sub_co_u32_e64 v28, s[0:1], v57, v63
	v_add_f32_e32 v52, v52, v77
	v_fmac_f32_e32 v60, 0xbf167918, v65
	v_add_f32_e32 v67, v67, v68
	v_fmac_f32_e32 v34, 0x3f167918, v65
	v_subbrev_co_u32_e64 v29, s[0:1], 0, v64, s[0:1]
	v_fmac_f32_e32 v60, 0x3e9e377a, v67
	v_fmac_f32_e32 v34, 0x3e9e377a, v67
	ds_write2_b64 v114, v[51:52], v[55:56] offset0:110 offset1:121
	ds_write2_b64 v114, v[59:60], v[33:34] offset0:132 offset1:143
	ds_write_b64 v114, v[53:54] offset:1232
	s_waitcnt lgkmcnt(0)
	; wave barrier
	s_waitcnt lgkmcnt(0)
	global_load_dwordx4 v[28:31], v[28:29], off offset:352
	v_lshlrev_b32_e32 v36, 4, v61
	global_load_dwordx4 v[32:35], v32, s[2:3] offset:352
	v_add_u32_e32 v40, 0x210, v63
	global_load_dwordx4 v[36:39], v36, s[2:3] offset:352
	v_add_u32_e32 v44, 0x2c0, v63
	global_load_dwordx4 v[40:43], v40, s[2:3] offset:352
	s_add_u32 s0, s14, 0x528
	global_load_dwordx4 v[44:47], v44, s[2:3] offset:352
	ds_read2_b64 v[59:62], v108 offset1:11
	ds_read2_b64 v[52:55], v108 offset0:44 offset1:55
	ds_read2_b64 v[63:66], v108 offset0:110 offset1:121
	;; [unrolled: 1-line block ×6, first 2 shown]
	ds_read_b64 v[56:57], v108 offset:1232
	s_addc_u32 s1, s15, 0
	s_waitcnt vmcnt(4) lgkmcnt(6)
	v_mul_f32_e32 v75, v55, v29
	v_fma_f32 v75, v54, v28, -v75
	v_mul_f32_e32 v76, v54, v29
	s_waitcnt lgkmcnt(5)
	v_mul_f32_e32 v54, v64, v31
	v_fma_f32 v77, v63, v30, -v54
	s_waitcnt vmcnt(3) lgkmcnt(4)
	v_mul_f32_e32 v54, v68, v33
	v_fma_f32 v106, v67, v32, -v54
	v_mul_f32_e32 v111, v67, v33
	v_mul_f32_e32 v54, v66, v35
	v_fmac_f32_e32 v111, v68, v32
	v_fma_f32 v68, v65, v34, -v54
	s_waitcnt vmcnt(2)
	v_mul_f32_e32 v54, v70, v37
	v_fma_f32 v120, v69, v36, -v54
	s_waitcnt lgkmcnt(2)
	v_mul_f32_e32 v54, v72, v39
	v_fma_f32 v122, v71, v38, -v54
	s_waitcnt vmcnt(1) lgkmcnt(1)
	v_mul_f32_e32 v54, v116, v41
	v_fma_f32 v124, v115, v40, -v54
	v_mul_f32_e32 v115, v115, v41
	v_mul_f32_e32 v54, v74, v43
	v_fmac_f32_e32 v115, v116, v40
	v_fma_f32 v116, v73, v42, -v54
	s_waitcnt vmcnt(0)
	v_mul_f32_e32 v54, v118, v45
	v_fmac_f32_e32 v76, v55, v28
	v_mul_f32_e32 v105, v63, v31
	v_fma_f32 v126, v117, v44, -v54
	v_mul_f32_e32 v117, v117, v45
	s_waitcnt lgkmcnt(0)
	v_mul_f32_e32 v54, v57, v47
	v_add_f32_e32 v55, v75, v77
	v_fmac_f32_e32 v105, v64, v30
	v_fmac_f32_e32 v117, v118, v44
	v_fma_f32 v118, v56, v46, -v54
	v_add_f32_e32 v54, v59, v75
	v_fma_f32 v59, -0.5, v55, v59
	v_mul_f32_e32 v127, v56, v47
	v_sub_f32_e32 v55, v76, v105
	v_mov_b32_e32 v63, v59
	v_add_f32_e32 v56, v76, v105
	v_fmac_f32_e32 v63, 0x3f5db3d7, v55
	v_fmac_f32_e32 v59, 0xbf5db3d7, v55
	v_add_f32_e32 v55, v60, v76
	v_fma_f32 v60, -0.5, v56, v60
	v_sub_f32_e32 v56, v75, v77
	v_mov_b32_e32 v64, v60
	v_fmac_f32_e32 v64, 0xbf5db3d7, v56
	v_fmac_f32_e32 v60, 0x3f5db3d7, v56
	v_add_f32_e32 v56, v61, v106
	v_mul_f32_e32 v119, v65, v35
	v_add_f32_e32 v65, v56, v68
	v_add_f32_e32 v56, v106, v68
	v_fmac_f32_e32 v119, v66, v34
	v_fma_f32 v61, -0.5, v56, v61
	v_sub_f32_e32 v56, v111, v119
	v_mov_b32_e32 v67, v61
	v_fmac_f32_e32 v67, 0x3f5db3d7, v56
	v_fmac_f32_e32 v61, 0xbf5db3d7, v56
	v_add_f32_e32 v56, v62, v111
	v_add_f32_e32 v66, v56, v119
	;; [unrolled: 1-line block ×3, first 2 shown]
	v_fmac_f32_e32 v62, -0.5, v56
	v_sub_f32_e32 v56, v106, v68
	v_mov_b32_e32 v68, v62
	v_fmac_f32_e32 v68, 0xbf5db3d7, v56
	v_fmac_f32_e32 v62, 0x3f5db3d7, v56
	v_add_f32_e32 v56, v48, v120
	v_mul_f32_e32 v121, v69, v37
	v_mul_f32_e32 v123, v71, v39
	v_add_f32_e32 v69, v56, v122
	v_add_f32_e32 v56, v120, v122
	v_fmac_f32_e32 v121, v70, v36
	v_fmac_f32_e32 v123, v72, v38
	v_fma_f32 v71, -0.5, v56, v48
	v_mul_f32_e32 v125, v73, v43
	v_sub_f32_e32 v48, v121, v123
	v_mov_b32_e32 v73, v71
	v_fmac_f32_e32 v73, 0x3f5db3d7, v48
	v_fmac_f32_e32 v71, 0xbf5db3d7, v48
	v_add_f32_e32 v48, v49, v121
	v_add_f32_e32 v70, v48, v123
	v_add_f32_e32 v48, v121, v123
	v_fma_f32 v72, -0.5, v48, v49
	v_fmac_f32_e32 v125, v74, v42
	v_sub_f32_e32 v48, v120, v122
	v_mov_b32_e32 v74, v72
	v_fmac_f32_e32 v74, 0xbf5db3d7, v48
	v_fmac_f32_e32 v72, 0x3f5db3d7, v48
	v_add_f32_e32 v48, v50, v124
	v_add_f32_e32 v75, v48, v116
	;; [unrolled: 1-line block ×3, first 2 shown]
	v_fma_f32 v50, -0.5, v48, v50
	v_add_f32_e32 v55, v55, v105
	v_sub_f32_e32 v48, v115, v125
	v_mov_b32_e32 v105, v50
	v_fmac_f32_e32 v105, 0x3f5db3d7, v48
	v_fmac_f32_e32 v50, 0xbf5db3d7, v48
	v_add_f32_e32 v48, v51, v115
	v_add_f32_e32 v76, v48, v125
	;; [unrolled: 1-line block ×3, first 2 shown]
	v_fmac_f32_e32 v51, -0.5, v48
	v_sub_f32_e32 v48, v124, v116
	v_mov_b32_e32 v106, v51
	v_fmac_f32_e32 v106, 0xbf5db3d7, v48
	v_fmac_f32_e32 v51, 0x3f5db3d7, v48
	v_add_f32_e32 v48, v52, v126
	v_add_f32_e32 v56, v48, v118
	;; [unrolled: 1-line block ×3, first 2 shown]
	v_fmac_f32_e32 v127, v57, v46
	v_fma_f32 v52, -0.5, v48, v52
	v_sub_f32_e32 v49, v117, v127
	v_mov_b32_e32 v48, v52
	v_fmac_f32_e32 v48, 0x3f5db3d7, v49
	v_fmac_f32_e32 v52, 0xbf5db3d7, v49
	v_add_f32_e32 v49, v53, v117
	v_add_f32_e32 v57, v49, v127
	;; [unrolled: 1-line block ×3, first 2 shown]
	v_fmac_f32_e32 v53, -0.5, v49
	v_add_f32_e32 v54, v54, v77
	v_sub_f32_e32 v77, v126, v118
	v_mov_b32_e32 v49, v53
	v_lshl_add_u32 v111, v107, 3, v110
	v_fmac_f32_e32 v49, 0xbf5db3d7, v77
	v_fmac_f32_e32 v53, 0x3f5db3d7, v77
	ds_write_b64 v108, v[54:55]
	ds_write2_b64 v111, v[63:64], v[67:68] offset0:55 offset1:66
	ds_write2_b64 v111, v[59:60], v[61:62] offset0:110 offset1:121
	ds_write2_b64 v111, v[65:66], v[69:70] offset0:11 offset1:22
	ds_write_b64 v108, v[73:74] offset:616
	ds_write_b64 v108, v[71:72] offset:1056
	;; [unrolled: 1-line block ×8, first 2 shown]
	s_waitcnt lgkmcnt(0)
	; wave barrier
	s_waitcnt lgkmcnt(0)
	global_load_dwordx2 v[54:55], v[78:79], off offset:1320
	global_load_dwordx2 v[67:68], v58, s[0:1] offset:120
	global_load_dwordx2 v[69:70], v58, s[0:1] offset:240
	;; [unrolled: 1-line block ×10, first 2 shown]
	ds_read2_b64 v[59:62], v108 offset1:15
	s_waitcnt vmcnt(10) lgkmcnt(0)
	v_mul_f32_e32 v63, v60, v55
	v_fma_f32 v123, v59, v54, -v63
	ds_read2_b64 v[63:66], v108 offset0:30 offset1:45
	v_mul_f32_e32 v124, v59, v55
	v_fmac_f32_e32 v124, v60, v54
	s_waitcnt vmcnt(9)
	v_mul_f32_e32 v54, v62, v68
	v_mul_f32_e32 v55, v61, v68
	v_fma_f32 v54, v61, v67, -v54
	v_fmac_f32_e32 v55, v62, v67
	ds_read2_b64 v[59:62], v108 offset0:60 offset1:75
	ds_write2_b64 v108, v[123:124], v[54:55] offset1:15
	s_waitcnt vmcnt(8) lgkmcnt(2)
	v_mul_f32_e32 v54, v64, v70
	v_mul_f32_e32 v55, v63, v70
	v_fma_f32 v54, v63, v69, -v54
	v_fmac_f32_e32 v55, v64, v69
	s_waitcnt vmcnt(7)
	v_mul_f32_e32 v63, v66, v72
	v_mul_f32_e32 v64, v65, v72
	v_fma_f32 v63, v65, v71, -v63
	v_fmac_f32_e32 v64, v66, v71
	ds_write2_b64 v108, v[54:55], v[63:64] offset0:30 offset1:45
	s_waitcnt vmcnt(6) lgkmcnt(2)
	v_mul_f32_e32 v54, v60, v74
	v_mul_f32_e32 v55, v59, v74
	ds_read2_b64 v[63:66], v108 offset0:90 offset1:105
	v_fma_f32 v54, v59, v73, -v54
	v_fmac_f32_e32 v55, v60, v73
	s_waitcnt vmcnt(5)
	v_mul_f32_e32 v59, v62, v76
	v_mul_f32_e32 v60, v61, v76
	v_fma_f32 v59, v61, v75, -v59
	v_fmac_f32_e32 v60, v62, v75
	ds_write2_b64 v108, v[54:55], v[59:60] offset0:60 offset1:75
	ds_read2_b64 v[59:62], v108 offset0:120 offset1:135
	s_waitcnt vmcnt(4) lgkmcnt(2)
	v_mul_f32_e32 v54, v64, v106
	v_mul_f32_e32 v55, v63, v106
	v_fma_f32 v54, v63, v105, -v54
	v_fmac_f32_e32 v55, v64, v105
	s_waitcnt vmcnt(3)
	v_mul_f32_e32 v63, v66, v116
	v_mul_f32_e32 v64, v65, v116
	v_fma_f32 v63, v65, v115, -v63
	v_fmac_f32_e32 v64, v66, v115
	ds_write2_b64 v108, v[54:55], v[63:64] offset0:90 offset1:105
	s_waitcnt vmcnt(2) lgkmcnt(1)
	v_mul_f32_e32 v54, v60, v118
	v_mul_f32_e32 v55, v59, v118
	v_fma_f32 v54, v59, v117, -v54
	v_fmac_f32_e32 v55, v60, v117
	ds_read_b64 v[59:60], v108 offset:1200
	s_waitcnt vmcnt(1)
	v_mul_f32_e32 v63, v62, v120
	v_mul_f32_e32 v64, v61, v120
	v_fma_f32 v63, v61, v119, -v63
	v_fmac_f32_e32 v64, v62, v119
	ds_write2_b64 v108, v[54:55], v[63:64] offset0:120 offset1:135
	s_waitcnt vmcnt(0) lgkmcnt(1)
	v_mul_f32_e32 v54, v60, v122
	v_mul_f32_e32 v55, v59, v122
	v_fma_f32 v54, v59, v121, -v54
	v_fmac_f32_e32 v55, v60, v121
	ds_write_b64 v108, v[54:55] offset:1200
	s_and_saveexec_b64 s[2:3], vcc
	s_cbranch_execz .LBB0_9
; %bb.8:
	v_mov_b32_e32 v55, s1
	v_add_co_u32_e64 v54, s[0:1], s0, v58
	v_addc_co_u32_e64 v55, s[0:1], 0, v55, s[0:1]
	global_load_dwordx2 v[105:106], v[54:55], off offset:88
	global_load_dwordx2 v[115:116], v[54:55], off offset:208
	;; [unrolled: 1-line block ×11, first 2 shown]
	ds_read2_b64 v[58:61], v111 offset0:11 offset1:26
	ds_read2_b64 v[62:65], v111 offset0:41 offset1:56
	;; [unrolled: 1-line block ×5, first 2 shown]
	ds_read_b64 v[54:55], v111 offset:1288
	s_waitcnt vmcnt(10) lgkmcnt(5)
	v_mul_f32_e32 v136, v59, v106
	v_mul_f32_e32 v135, v58, v106
	s_waitcnt vmcnt(9)
	v_mul_f32_e32 v137, v61, v116
	v_mul_f32_e32 v106, v60, v116
	s_waitcnt vmcnt(8) lgkmcnt(4)
	v_mul_f32_e32 v138, v63, v118
	v_mul_f32_e32 v116, v62, v118
	s_waitcnt vmcnt(7)
	v_mul_f32_e32 v139, v65, v120
	v_mul_f32_e32 v118, v64, v120
	;; [unrolled: 6-line block ×5, first 2 shown]
	s_waitcnt vmcnt(0) lgkmcnt(0)
	v_mul_f32_e32 v146, v55, v134
	v_mul_f32_e32 v132, v54, v134
	v_fma_f32 v134, v58, v105, -v136
	v_fmac_f32_e32 v135, v59, v105
	v_fma_f32 v105, v60, v115, -v137
	v_fmac_f32_e32 v106, v61, v115
	v_fma_f32 v115, v62, v117, -v138
	v_fmac_f32_e32 v116, v63, v117
	v_fma_f32 v117, v64, v119, -v139
	v_fmac_f32_e32 v118, v65, v119
	v_fma_f32 v119, v66, v121, -v140
	v_fmac_f32_e32 v120, v67, v121
	v_fma_f32 v121, v68, v123, -v141
	v_fmac_f32_e32 v122, v69, v123
	v_fma_f32 v123, v70, v125, -v142
	v_fmac_f32_e32 v124, v71, v125
	v_fma_f32 v125, v72, v127, -v143
	v_fmac_f32_e32 v126, v73, v127
	v_fma_f32 v127, v74, v129, -v144
	v_fmac_f32_e32 v128, v75, v129
	v_fma_f32 v129, v76, v131, -v145
	v_fmac_f32_e32 v130, v77, v131
	v_fma_f32 v131, v54, v133, -v146
	v_fmac_f32_e32 v132, v55, v133
	ds_write2_b64 v111, v[134:135], v[105:106] offset0:11 offset1:26
	ds_write2_b64 v111, v[115:116], v[117:118] offset0:41 offset1:56
	;; [unrolled: 1-line block ×5, first 2 shown]
	ds_write_b64 v111, v[131:132] offset:1288
.LBB0_9:
	s_or_b64 exec, exec, s[2:3]
	s_waitcnt lgkmcnt(0)
	; wave barrier
	s_waitcnt lgkmcnt(0)
	ds_read2_b64 v[74:77], v108 offset1:15
	ds_read2_b64 v[66:69], v108 offset0:30 offset1:45
	ds_read2_b64 v[58:61], v108 offset0:60 offset1:75
	ds_read2_b64 v[62:65], v108 offset0:90 offset1:105
	ds_read2_b64 v[70:73], v108 offset0:120 offset1:135
	ds_read_b64 v[105:106], v108 offset:1200
	s_and_saveexec_b64 s[0:1], vcc
	s_cbranch_execz .LBB0_11
; %bb.10:
	ds_read2_b64 v[54:57], v111 offset0:11 offset1:26
	ds_read2_b64 v[48:51], v111 offset0:41 offset1:56
	;; [unrolled: 1-line block ×5, first 2 shown]
	ds_read_b64 v[103:104], v111 offset:1288
	s_waitcnt lgkmcnt(4)
	v_mov_b32_e32 v52, v50
	v_mov_b32_e32 v53, v51
	;; [unrolled: 1-line block ×4, first 2 shown]
.LBB0_11:
	s_or_b64 exec, exec, s[0:1]
	s_waitcnt lgkmcnt(5)
	v_add_f32_e32 v116, v74, v76
	v_add_f32_e32 v117, v75, v77
	s_waitcnt lgkmcnt(4)
	v_add_f32_e32 v116, v116, v66
	v_add_f32_e32 v117, v117, v67
	v_add_f32_e32 v116, v116, v68
	v_add_f32_e32 v117, v117, v69
	s_waitcnt lgkmcnt(3)
	v_add_f32_e32 v116, v116, v58
	v_add_f32_e32 v117, v117, v59
	;; [unrolled: 5-line block ×4, first 2 shown]
	v_add_f32_e32 v116, v116, v72
	s_waitcnt lgkmcnt(0)
	v_add_f32_e32 v119, v106, v77
	v_sub_f32_e32 v77, v77, v106
	v_add_f32_e32 v117, v117, v73
	v_add_f32_e32 v116, v116, v105
	v_add_f32_e32 v118, v105, v76
	v_sub_f32_e32 v76, v76, v105
	v_mul_f32_e32 v105, 0xbf0a6770, v77
	v_mul_f32_e32 v122, 0xbf68dda4, v77
	;; [unrolled: 1-line block ×5, first 2 shown]
	v_add_f32_e32 v117, v117, v106
	s_mov_b32 s2, 0x3f575c64
	v_mov_b32_e32 v106, v105
	s_mov_b32 s3, 0x3ed4b147
	v_mov_b32_e32 v123, v122
	v_mov_b32_e32 v127, v126
	;; [unrolled: 1-line block ×4, first 2 shown]
	v_fmac_f32_e32 v106, 0x3f575c64, v118
	v_mul_f32_e32 v120, 0x3f575c64, v119
	v_fma_f32 v105, v118, s2, -v105
	v_fmac_f32_e32 v123, 0x3ed4b147, v118
	v_mul_f32_e32 v124, 0x3ed4b147, v119
	v_fma_f32 v122, v118, s3, -v122
	;; [unrolled: 3-line block ×5, first 2 shown]
	v_add_f32_e32 v106, v74, v106
	v_mov_b32_e32 v121, v120
	v_add_f32_e32 v105, v74, v105
	v_add_f32_e32 v123, v74, v123
	v_mov_b32_e32 v125, v124
	v_add_f32_e32 v122, v74, v122
	;; [unrolled: 3-line block ×5, first 2 shown]
	v_add_f32_e32 v77, v73, v67
	v_sub_f32_e32 v67, v67, v73
	v_fmac_f32_e32 v121, 0x3f0a6770, v76
	v_fmac_f32_e32 v120, 0xbf0a6770, v76
	;; [unrolled: 1-line block ×10, first 2 shown]
	v_add_f32_e32 v76, v72, v66
	v_sub_f32_e32 v66, v66, v72
	v_mul_f32_e32 v72, 0xbf68dda4, v67
	v_mov_b32_e32 v73, v72
	v_fmac_f32_e32 v73, 0x3ed4b147, v76
	v_add_f32_e32 v73, v73, v106
	v_mul_f32_e32 v106, 0x3ed4b147, v77
	v_add_f32_e32 v120, v75, v120
	v_mov_b32_e32 v118, v106
	v_fma_f32 v72, v76, s3, -v72
	v_fmac_f32_e32 v106, 0xbf68dda4, v66
	v_add_f32_e32 v72, v72, v105
	v_add_f32_e32 v105, v106, v120
	v_mul_f32_e32 v106, 0xbf4178ce, v67
	v_add_f32_e32 v121, v75, v121
	v_add_f32_e32 v125, v75, v125
	;; [unrolled: 1-line block ×9, first 2 shown]
	v_mov_b32_e32 v119, v106
	v_fma_f32 v106, v76, s5, -v106
	v_fmac_f32_e32 v118, 0x3f68dda4, v66
	v_fmac_f32_e32 v119, 0xbf27a4f4, v76
	v_mul_f32_e32 v120, 0xbf27a4f4, v77
	v_add_f32_e32 v106, v106, v122
	v_mul_f32_e32 v122, 0x3e903f40, v67
	v_add_f32_e32 v118, v118, v121
	v_add_f32_e32 v119, v119, v123
	v_mov_b32_e32 v121, v120
	v_fmac_f32_e32 v120, 0xbf4178ce, v66
	v_mov_b32_e32 v123, v122
	v_fma_f32 v122, v76, s12, -v122
	v_fmac_f32_e32 v121, 0x3f4178ce, v66
	v_add_f32_e32 v120, v120, v124
	v_fmac_f32_e32 v123, 0xbf75a155, v76
	v_mul_f32_e32 v124, 0xbf75a155, v77
	v_add_f32_e32 v122, v122, v126
	v_mul_f32_e32 v126, 0x3f7d64f0, v67
	v_add_f32_e32 v121, v121, v125
	v_add_f32_e32 v123, v123, v127
	v_mov_b32_e32 v125, v124
	v_fmac_f32_e32 v124, 0x3e903f40, v66
	v_mov_b32_e32 v127, v126
	v_fmac_f32_e32 v125, 0xbe903f40, v66
	v_add_f32_e32 v124, v124, v128
	v_fmac_f32_e32 v127, 0xbe11bafb, v76
	v_mul_f32_e32 v128, 0xbe11bafb, v77
	v_mul_f32_e32 v77, 0x3f575c64, v77
	v_add_f32_e32 v125, v125, v129
	v_add_f32_e32 v127, v127, v131
	v_mov_b32_e32 v129, v128
	v_fma_f32 v126, v76, s4, -v126
	v_mul_f32_e32 v67, 0x3f0a6770, v67
	v_mov_b32_e32 v131, v77
	v_fmac_f32_e32 v77, 0x3f0a6770, v66
	v_fmac_f32_e32 v129, 0xbf7d64f0, v66
	v_add_f32_e32 v126, v126, v130
	v_fmac_f32_e32 v128, 0x3f7d64f0, v66
	v_mov_b32_e32 v130, v67
	v_fmac_f32_e32 v131, 0xbf0a6770, v66
	v_fma_f32 v67, v76, s2, -v67
	v_add_f32_e32 v66, v77, v75
	v_add_f32_e32 v75, v71, v69
	v_sub_f32_e32 v69, v69, v71
	v_add_f32_e32 v67, v67, v74
	v_add_f32_e32 v74, v70, v68
	v_sub_f32_e32 v68, v68, v70
	v_mul_f32_e32 v70, 0xbf7d64f0, v69
	v_mov_b32_e32 v71, v70
	v_fmac_f32_e32 v71, 0xbe11bafb, v74
	v_add_f32_e32 v71, v71, v73
	v_mul_f32_e32 v73, 0xbe11bafb, v75
	v_fmac_f32_e32 v130, 0x3f575c64, v76
	v_mov_b32_e32 v76, v73
	v_fma_f32 v70, v74, s4, -v70
	v_fmac_f32_e32 v73, 0xbf7d64f0, v68
	v_add_f32_e32 v70, v70, v72
	v_add_f32_e32 v72, v73, v105
	v_mul_f32_e32 v73, 0x3e903f40, v69
	v_mov_b32_e32 v77, v73
	v_fma_f32 v73, v74, s12, -v73
	v_fmac_f32_e32 v76, 0x3f7d64f0, v68
	v_fmac_f32_e32 v77, 0xbf75a155, v74
	v_mul_f32_e32 v105, 0xbf75a155, v75
	v_add_f32_e32 v73, v73, v106
	v_mul_f32_e32 v106, 0x3f68dda4, v69
	v_add_f32_e32 v76, v76, v118
	v_add_f32_e32 v77, v77, v119
	v_mov_b32_e32 v118, v105
	v_fmac_f32_e32 v105, 0x3e903f40, v68
	v_mov_b32_e32 v119, v106
	v_fma_f32 v106, v74, s3, -v106
	v_fmac_f32_e32 v118, 0xbe903f40, v68
	v_add_f32_e32 v105, v105, v120
	v_fmac_f32_e32 v119, 0x3ed4b147, v74
	v_mul_f32_e32 v120, 0x3ed4b147, v75
	v_add_f32_e32 v106, v106, v122
	v_mul_f32_e32 v122, 0xbf0a6770, v69
	v_add_f32_e32 v118, v118, v121
	v_add_f32_e32 v119, v119, v123
	v_mov_b32_e32 v121, v120
	v_fmac_f32_e32 v120, 0x3f68dda4, v68
	v_mov_b32_e32 v123, v122
	v_fma_f32 v122, v74, s2, -v122
	v_mul_f32_e32 v69, 0xbf4178ce, v69
	v_fmac_f32_e32 v121, 0xbf68dda4, v68
	v_add_f32_e32 v120, v120, v124
	v_fmac_f32_e32 v123, 0x3f575c64, v74
	v_mul_f32_e32 v124, 0x3f575c64, v75
	v_add_f32_e32 v122, v122, v126
	v_mov_b32_e32 v126, v69
	v_mul_f32_e32 v75, 0xbf27a4f4, v75
	v_fma_f32 v69, v74, s5, -v69
	v_add_f32_e32 v121, v121, v125
	v_add_f32_e32 v123, v123, v127
	v_mov_b32_e32 v125, v124
	v_mov_b32_e32 v127, v75
	v_add_f32_e32 v67, v69, v67
	v_add_f32_e32 v69, v65, v59
	v_sub_f32_e32 v59, v59, v65
	v_fmac_f32_e32 v125, 0x3f0a6770, v68
	v_fmac_f32_e32 v124, 0xbf0a6770, v68
	;; [unrolled: 1-line block ×4, first 2 shown]
	v_add_f32_e32 v68, v64, v58
	v_sub_f32_e32 v58, v58, v64
	v_mul_f32_e32 v64, 0xbf4178ce, v59
	v_mov_b32_e32 v65, v64
	v_fmac_f32_e32 v65, 0xbf27a4f4, v68
	v_add_f32_e32 v65, v65, v71
	v_mul_f32_e32 v71, 0xbf27a4f4, v69
	v_fmac_f32_e32 v126, 0xbf27a4f4, v74
	v_mov_b32_e32 v74, v71
	v_fma_f32 v64, v68, s5, -v64
	v_fmac_f32_e32 v71, 0xbf4178ce, v58
	v_add_f32_e32 v66, v75, v66
	v_fmac_f32_e32 v74, 0x3f4178ce, v58
	v_add_f32_e32 v64, v64, v70
	v_add_f32_e32 v70, v71, v72
	v_mul_f32_e32 v71, 0x3f7d64f0, v59
	v_mul_f32_e32 v75, 0xbe11bafb, v69
	v_add_f32_e32 v74, v74, v76
	v_mov_b32_e32 v72, v71
	v_mov_b32_e32 v76, v75
	v_fma_f32 v71, v68, s4, -v71
	v_fmac_f32_e32 v75, 0x3f7d64f0, v58
	v_fmac_f32_e32 v72, 0xbe11bafb, v68
	v_add_f32_e32 v71, v71, v73
	v_add_f32_e32 v73, v75, v105
	v_mul_f32_e32 v75, 0xbf0a6770, v59
	v_add_f32_e32 v72, v72, v77
	v_mov_b32_e32 v77, v75
	v_fma_f32 v75, v68, s2, -v75
	v_fmac_f32_e32 v77, 0x3f575c64, v68
	v_add_f32_e32 v75, v75, v106
	v_mul_f32_e32 v106, 0xbe903f40, v59
	v_fmac_f32_e32 v76, 0xbf7d64f0, v58
	v_add_f32_e32 v77, v77, v119
	v_mul_f32_e32 v105, 0x3f575c64, v69
	v_mov_b32_e32 v119, v106
	v_fma_f32 v106, v68, s12, -v106
	v_mul_f32_e32 v59, 0x3f68dda4, v59
	v_add_f32_e32 v129, v129, v133
	v_add_f32_e32 v130, v130, v134
	;; [unrolled: 1-line block ×3, first 2 shown]
	v_mov_b32_e32 v118, v105
	v_fmac_f32_e32 v105, 0xbf0a6770, v58
	v_add_f32_e32 v106, v106, v122
	v_mov_b32_e32 v122, v59
	v_add_f32_e32 v128, v128, v132
	v_add_f32_e32 v125, v125, v129
	;; [unrolled: 1-line block ×3, first 2 shown]
	v_fmac_f32_e32 v118, 0x3f0a6770, v58
	v_add_f32_e32 v105, v105, v120
	v_fmac_f32_e32 v119, 0xbf75a155, v68
	v_mul_f32_e32 v120, 0xbf75a155, v69
	v_fmac_f32_e32 v122, 0x3ed4b147, v68
	v_mul_f32_e32 v69, 0x3ed4b147, v69
	v_sub_f32_e32 v129, v61, v63
	v_add_f32_e32 v131, v131, v135
	v_add_f32_e32 v124, v124, v128
	;; [unrolled: 1-line block ×4, first 2 shown]
	v_mov_b32_e32 v121, v120
	v_add_f32_e32 v122, v122, v126
	v_mov_b32_e32 v123, v69
	v_add_f32_e32 v126, v62, v60
	v_sub_f32_e32 v128, v60, v62
	v_mul_f32_e32 v60, 0xbe903f40, v129
	v_add_f32_e32 v127, v127, v131
	v_fmac_f32_e32 v121, 0x3e903f40, v58
	v_fmac_f32_e32 v120, 0xbe903f40, v58
	;; [unrolled: 1-line block ×4, first 2 shown]
	v_mov_b32_e32 v58, v60
	v_add_f32_e32 v123, v123, v127
	v_add_f32_e32 v127, v63, v61
	v_fmac_f32_e32 v58, 0xbf75a155, v126
	v_fma_f32 v60, v126, s12, -v60
	v_fma_f32 v59, v68, s3, -v59
	v_add_f32_e32 v58, v58, v65
	v_add_f32_e32 v60, v60, v64
	v_mul_f32_e32 v64, 0x3f0a6770, v129
	v_mul_f32_e32 v65, 0x3f575c64, v127
	;; [unrolled: 1-line block ×3, first 2 shown]
	v_add_f32_e32 v121, v121, v125
	v_add_f32_e32 v125, v69, v66
	v_mul_f32_e32 v61, 0xbf75a155, v127
	v_mov_b32_e32 v62, v64
	v_mov_b32_e32 v63, v65
	;; [unrolled: 1-line block ×3, first 2 shown]
	v_add_f32_e32 v120, v120, v124
	v_add_f32_e32 v124, v59, v67
	v_mov_b32_e32 v59, v61
	v_fmac_f32_e32 v62, 0x3f575c64, v126
	v_fmac_f32_e32 v63, 0xbf0a6770, v128
	;; [unrolled: 1-line block ×6, first 2 shown]
	v_add_f32_e32 v62, v62, v72
	v_add_f32_e32 v63, v63, v76
	v_fma_f32 v64, v126, s2, -v64
	v_add_f32_e32 v65, v65, v73
	v_add_f32_e32 v66, v66, v77
	v_mul_f32_e32 v69, 0xbf27a4f4, v127
	v_fma_f32 v68, v126, s5, -v68
	v_mul_f32_e32 v72, 0x3f68dda4, v129
	v_mul_f32_e32 v73, 0x3ed4b147, v127
	v_mul_f32_e32 v76, 0xbf7d64f0, v129
	v_mul_f32_e32 v77, 0xbe11bafb, v127
	v_add_f32_e32 v59, v59, v74
	v_add_f32_e32 v61, v61, v70
	;; [unrolled: 1-line block ×3, first 2 shown]
	v_mov_b32_e32 v67, v69
	v_add_f32_e32 v68, v68, v75
	v_mov_b32_e32 v70, v72
	v_mov_b32_e32 v71, v73
	;; [unrolled: 1-line block ×4, first 2 shown]
	v_add_u32_e32 v115, 0xb0, v108
	v_add_u32_e32 v55, 0x108, v108
	;; [unrolled: 1-line block ×3, first 2 shown]
	v_fmac_f32_e32 v67, 0x3f4178ce, v128
	v_fmac_f32_e32 v69, 0xbf4178ce, v128
	;; [unrolled: 1-line block ×4, first 2 shown]
	v_fma_f32 v72, v126, s3, -v72
	v_fmac_f32_e32 v73, 0x3f68dda4, v128
	v_fmac_f32_e32 v74, 0xbe11bafb, v126
	;; [unrolled: 1-line block ×3, first 2 shown]
	v_fma_f32 v76, v126, s4, -v76
	v_fmac_f32_e32 v77, 0xbf7d64f0, v128
	v_add_f32_e32 v67, v67, v118
	v_add_f32_e32 v69, v69, v105
	;; [unrolled: 1-line block ×10, first 2 shown]
	s_waitcnt lgkmcnt(0)
	; wave barrier
	ds_write2_b64 v113, v[116:117], v[58:59] offset1:1
	ds_write2_b64 v113, v[62:63], v[66:67] offset0:2 offset1:3
	ds_write2_b64 v113, v[70:71], v[74:75] offset0:4 offset1:5
	;; [unrolled: 1-line block ×4, first 2 shown]
	ds_write_b64 v113, v[60:61] offset:80
	s_and_saveexec_b64 s[0:1], vcc
	s_cbranch_execz .LBB0_13
; %bb.12:
	v_add_f32_e32 v66, v104, v57
	v_mul_f32_e32 v68, 0xbf75a155, v66
	v_add_f32_e32 v67, v3, v49
	v_sub_f32_e32 v69, v56, v103
	v_mov_b32_e32 v58, v68
	v_mul_f32_e32 v70, 0x3f575c64, v67
	v_fmac_f32_e32 v58, 0x3e903f40, v69
	v_sub_f32_e32 v71, v48, v2
	v_mov_b32_e32 v59, v70
	v_add_f32_e32 v72, v1, v53
	v_add_f32_e32 v58, v51, v58
	v_fmac_f32_e32 v59, 0xbf0a6770, v71
	v_mul_f32_e32 v73, 0xbf27a4f4, v72
	v_add_f32_e32 v58, v59, v58
	v_sub_f32_e32 v74, v52, v0
	v_mov_b32_e32 v59, v73
	v_add_f32_e32 v75, v15, v5
	v_fmac_f32_e32 v59, 0x3f4178ce, v74
	v_mul_f32_e32 v76, 0x3ed4b147, v75
	v_add_f32_e32 v58, v59, v58
	v_sub_f32_e32 v77, v4, v14
	v_mov_b32_e32 v59, v76
	;; [unrolled: 6-line block ×3, first 2 shown]
	v_sub_f32_e32 v117, v57, v104
	v_fmac_f32_e32 v59, 0x3f7d64f0, v113
	v_mul_f32_e32 v118, 0xbe903f40, v117
	v_sub_f32_e32 v120, v49, v3
	v_add_f32_e32 v59, v59, v58
	v_add_f32_e32 v116, v103, v56
	v_mov_b32_e32 v58, v118
	v_mul_f32_e32 v121, 0x3f0a6770, v120
	v_fmac_f32_e32 v58, 0xbf75a155, v116
	v_add_f32_e32 v119, v2, v48
	v_mov_b32_e32 v60, v121
	v_sub_f32_e32 v123, v53, v1
	v_add_f32_e32 v58, v50, v58
	v_fmac_f32_e32 v60, 0x3f575c64, v119
	v_mul_f32_e32 v124, 0xbf4178ce, v123
	v_add_f32_e32 v58, v60, v58
	v_add_f32_e32 v122, v0, v52
	v_mov_b32_e32 v60, v124
	v_sub_f32_e32 v126, v5, v15
	v_fmac_f32_e32 v60, 0xbf27a4f4, v122
	v_mul_f32_e32 v127, 0x3f68dda4, v126
	v_add_f32_e32 v58, v60, v58
	v_add_f32_e32 v125, v14, v4
	v_mov_b32_e32 v60, v127
	v_sub_f32_e32 v129, v7, v13
	v_fmac_f32_e32 v60, 0x3ed4b147, v125
	v_mul_f32_e32 v130, 0xbf7d64f0, v129
	v_add_f32_e32 v58, v60, v58
	v_add_f32_e32 v128, v12, v6
	v_mov_b32_e32 v60, v130
	v_fmac_f32_e32 v60, 0xbe11bafb, v128
	v_mul_f32_e32 v131, 0xbf27a4f4, v66
	v_add_f32_e32 v58, v60, v58
	v_mov_b32_e32 v60, v131
	v_mul_f32_e32 v132, 0xbe11bafb, v67
	v_fmac_f32_e32 v60, 0x3f4178ce, v69
	v_mov_b32_e32 v61, v132
	v_add_f32_e32 v60, v51, v60
	v_fmac_f32_e32 v61, 0xbf7d64f0, v71
	v_mul_f32_e32 v133, 0x3f575c64, v72
	v_add_f32_e32 v60, v61, v60
	v_mov_b32_e32 v61, v133
	v_fmac_f32_e32 v61, 0x3f0a6770, v74
	v_mul_f32_e32 v134, 0xbf75a155, v75
	v_add_f32_e32 v60, v61, v60
	v_mov_b32_e32 v61, v134
	v_fmac_f32_e32 v61, 0x3e903f40, v77
	v_mul_f32_e32 v135, 0x3ed4b147, v105
	v_add_f32_e32 v60, v61, v60
	v_mov_b32_e32 v61, v135
	v_fmac_f32_e32 v61, 0xbf68dda4, v113
	v_mul_f32_e32 v136, 0xbf4178ce, v117
	v_add_f32_e32 v61, v61, v60
	v_mov_b32_e32 v60, v136
	v_mul_f32_e32 v137, 0x3f7d64f0, v120
	v_fmac_f32_e32 v60, 0xbf27a4f4, v116
	v_mov_b32_e32 v62, v137
	v_add_f32_e32 v60, v50, v60
	v_fmac_f32_e32 v62, 0xbe11bafb, v119
	v_mul_f32_e32 v138, 0xbf0a6770, v123
	v_add_f32_e32 v60, v62, v60
	v_mov_b32_e32 v62, v138
	v_fmac_f32_e32 v62, 0x3f575c64, v122
	v_mul_f32_e32 v139, 0xbe903f40, v126
	v_add_f32_e32 v60, v62, v60
	v_mov_b32_e32 v62, v139
	v_fmac_f32_e32 v62, 0xbf75a155, v125
	v_mul_f32_e32 v140, 0x3f68dda4, v129
	v_add_f32_e32 v57, v57, v51
	v_add_f32_e32 v60, v62, v60
	v_mov_b32_e32 v62, v140
	v_add_f32_e32 v49, v49, v57
	v_fmac_f32_e32 v62, 0x3ed4b147, v128
	v_mul_f32_e32 v141, 0xbe11bafb, v66
	v_add_f32_e32 v49, v53, v49
	v_add_f32_e32 v60, v62, v60
	v_mov_b32_e32 v62, v141
	v_mul_f32_e32 v142, 0xbf75a155, v67
	v_add_f32_e32 v5, v5, v49
	v_fmac_f32_e32 v62, 0x3f7d64f0, v69
	v_mov_b32_e32 v63, v142
	v_add_f32_e32 v5, v7, v5
	v_add_f32_e32 v62, v51, v62
	v_fmac_f32_e32 v63, 0xbe903f40, v71
	v_mul_f32_e32 v143, 0x3ed4b147, v72
	v_add_f32_e32 v5, v13, v5
	v_add_f32_e32 v62, v63, v62
	v_mov_b32_e32 v63, v143
	v_add_f32_e32 v5, v15, v5
	v_fmac_f32_e32 v63, 0xbf68dda4, v74
	v_mul_f32_e32 v144, 0x3f575c64, v75
	v_add_f32_e32 v1, v1, v5
	v_add_f32_e32 v62, v63, v62
	v_mov_b32_e32 v63, v144
	v_add_f32_e32 v1, v3, v1
	v_add_f32_e32 v3, v56, v50
	v_fmac_f32_e32 v63, 0x3f0a6770, v77
	v_mul_f32_e32 v145, 0xbf27a4f4, v105
	v_add_f32_e32 v3, v48, v3
	v_add_f32_e32 v62, v63, v62
	v_mov_b32_e32 v63, v145
	v_add_f32_e32 v3, v52, v3
	v_fmac_f32_e32 v63, 0x3f4178ce, v113
	v_mul_f32_e32 v146, 0xbf7d64f0, v117
	v_add_f32_e32 v3, v4, v3
	v_add_f32_e32 v63, v63, v62
	v_mov_b32_e32 v62, v146
	v_mul_f32_e32 v147, 0x3e903f40, v120
	v_add_f32_e32 v3, v6, v3
	v_fmac_f32_e32 v62, 0xbe11bafb, v116
	v_mov_b32_e32 v64, v147
	v_add_f32_e32 v3, v12, v3
	v_add_f32_e32 v62, v50, v62
	v_fmac_f32_e32 v64, 0xbf75a155, v119
	v_mul_f32_e32 v148, 0x3f68dda4, v123
	v_add_f32_e32 v3, v14, v3
	v_add_f32_e32 v62, v64, v62
	v_mov_b32_e32 v64, v148
	v_add_f32_e32 v0, v0, v3
	v_fmac_f32_e32 v68, 0xbe903f40, v69
	v_fmac_f32_e32 v64, 0x3ed4b147, v122
	v_mul_f32_e32 v149, 0xbf0a6770, v126
	v_add_f32_e32 v0, v2, v0
	v_add_f32_e32 v2, v51, v68
	v_fmac_f32_e32 v70, 0x3f0a6770, v71
	v_add_f32_e32 v62, v64, v62
	v_mov_b32_e32 v64, v149
	v_add_f32_e32 v2, v70, v2
	v_fmac_f32_e32 v73, 0xbf4178ce, v74
	v_fmac_f32_e32 v64, 0x3f575c64, v125
	v_mul_f32_e32 v150, 0xbf4178ce, v129
	v_add_f32_e32 v2, v73, v2
	v_fmac_f32_e32 v76, 0x3f68dda4, v77
	v_add_f32_e32 v62, v64, v62
	v_mov_b32_e32 v64, v150
	v_add_f32_e32 v2, v76, v2
	v_fmac_f32_e32 v106, 0xbf7d64f0, v113
	v_fmac_f32_e32 v64, 0xbf27a4f4, v128
	v_mul_f32_e32 v151, 0x3ed4b147, v66
	v_add_f32_e32 v3, v106, v2
	v_fma_f32 v2, v116, s12, -v118
	v_add_f32_e32 v62, v64, v62
	v_mov_b32_e32 v64, v151
	v_mul_f32_e32 v152, 0xbf27a4f4, v67
	v_add_f32_e32 v2, v50, v2
	v_fma_f32 v4, v119, s2, -v121
	v_fmac_f32_e32 v64, 0x3f68dda4, v69
	v_mov_b32_e32 v65, v152
	v_add_f32_e32 v2, v4, v2
	v_fma_f32 v4, v122, s5, -v124
	v_add_f32_e32 v64, v51, v64
	v_fmac_f32_e32 v65, 0x3f4178ce, v71
	v_mul_f32_e32 v153, 0xbf75a155, v72
	v_add_f32_e32 v2, v4, v2
	v_fma_f32 v4, v125, s3, -v127
	v_add_f32_e32 v64, v65, v64
	v_mov_b32_e32 v65, v153
	v_add_f32_e32 v2, v4, v2
	v_fma_f32 v4, v128, s4, -v130
	v_fmac_f32_e32 v131, 0xbf4178ce, v69
	v_fmac_f32_e32 v65, 0xbe903f40, v74
	v_mul_f32_e32 v154, 0xbe11bafb, v75
	v_add_f32_e32 v2, v4, v2
	v_add_f32_e32 v4, v51, v131
	v_fmac_f32_e32 v132, 0x3f7d64f0, v71
	v_add_f32_e32 v64, v65, v64
	v_mov_b32_e32 v65, v154
	v_add_f32_e32 v4, v132, v4
	v_fmac_f32_e32 v133, 0xbf0a6770, v74
	v_fmac_f32_e32 v65, 0xbf7d64f0, v77
	v_mul_f32_e32 v155, 0x3f575c64, v105
	v_add_f32_e32 v4, v133, v4
	v_fmac_f32_e32 v134, 0xbe903f40, v77
	v_add_f32_e32 v64, v65, v64
	v_mov_b32_e32 v65, v155
	v_add_f32_e32 v4, v134, v4
	v_fmac_f32_e32 v135, 0x3f68dda4, v113
	v_fmac_f32_e32 v65, 0xbf0a6770, v113
	v_mul_f32_e32 v156, 0xbf68dda4, v117
	v_add_f32_e32 v5, v135, v4
	v_fma_f32 v4, v116, s5, -v136
	v_add_f32_e32 v65, v65, v64
	v_mov_b32_e32 v64, v156
	v_mul_f32_e32 v157, 0xbf4178ce, v120
	v_add_f32_e32 v4, v50, v4
	v_fma_f32 v6, v119, s4, -v137
	v_fmac_f32_e32 v64, 0x3ed4b147, v116
	v_mov_b32_e32 v158, v157
	v_add_f32_e32 v4, v6, v4
	v_fma_f32 v6, v122, s2, -v138
	v_add_f32_e32 v64, v50, v64
	v_fmac_f32_e32 v158, 0xbf27a4f4, v119
	v_add_f32_e32 v4, v6, v4
	v_fma_f32 v6, v125, s12, -v139
	v_add_f32_e32 v64, v158, v64
	v_mul_f32_e32 v158, 0x3e903f40, v123
	v_add_f32_e32 v4, v6, v4
	v_fma_f32 v6, v128, s3, -v140
	v_fmac_f32_e32 v141, 0xbf7d64f0, v69
	v_mov_b32_e32 v159, v158
	v_add_f32_e32 v4, v6, v4
	v_add_f32_e32 v6, v51, v141
	v_fmac_f32_e32 v142, 0x3e903f40, v71
	v_fmac_f32_e32 v159, 0xbf75a155, v122
	v_add_f32_e32 v6, v142, v6
	v_fmac_f32_e32 v143, 0x3f68dda4, v74
	v_add_f32_e32 v64, v159, v64
	v_mul_f32_e32 v159, 0x3f7d64f0, v126
	v_add_f32_e32 v6, v143, v6
	v_fmac_f32_e32 v144, 0xbf0a6770, v77
	v_mov_b32_e32 v160, v159
	v_add_f32_e32 v6, v144, v6
	v_fmac_f32_e32 v145, 0xbf4178ce, v113
	v_fmac_f32_e32 v160, 0xbe11bafb, v125
	v_add_f32_e32 v7, v145, v6
	v_fma_f32 v6, v116, s4, -v146
	v_add_f32_e32 v64, v160, v64
	v_mul_f32_e32 v160, 0x3f0a6770, v129
	v_add_f32_e32 v6, v50, v6
	v_fma_f32 v12, v119, s12, -v147
	v_mov_b32_e32 v161, v160
	v_add_f32_e32 v6, v12, v6
	v_fma_f32 v12, v122, s3, -v148
	v_fmac_f32_e32 v161, 0x3f575c64, v128
	v_add_f32_e32 v6, v12, v6
	v_fma_f32 v12, v125, s2, -v149
	v_add_f32_e32 v64, v161, v64
	v_mul_f32_e32 v161, 0x3f575c64, v66
	v_add_f32_e32 v6, v12, v6
	v_fma_f32 v12, v128, s5, -v150
	v_fmac_f32_e32 v151, 0xbf68dda4, v69
	v_mov_b32_e32 v66, v161
	v_mul_f32_e32 v162, 0x3ed4b147, v67
	v_add_f32_e32 v6, v12, v6
	v_add_f32_e32 v12, v51, v151
	v_fmac_f32_e32 v152, 0xbf4178ce, v71
	v_fmac_f32_e32 v66, 0x3f0a6770, v69
	v_mov_b32_e32 v67, v162
	v_add_f32_e32 v12, v152, v12
	v_fmac_f32_e32 v153, 0x3e903f40, v74
	v_add_f32_e32 v66, v51, v66
	v_fmac_f32_e32 v67, 0x3f68dda4, v71
	v_mul_f32_e32 v72, 0xbe11bafb, v72
	v_add_f32_e32 v12, v153, v12
	v_fmac_f32_e32 v154, 0x3f7d64f0, v77
	v_add_f32_e32 v66, v67, v66
	v_mov_b32_e32 v67, v72
	v_add_f32_e32 v12, v154, v12
	v_fmac_f32_e32 v155, 0x3f0a6770, v113
	v_fmac_f32_e32 v67, 0x3f7d64f0, v74
	v_mul_f32_e32 v75, 0xbf27a4f4, v75
	v_add_f32_e32 v13, v155, v12
	v_fma_f32 v12, v116, s3, -v156
	v_add_f32_e32 v66, v67, v66
	v_mov_b32_e32 v67, v75
	v_add_f32_e32 v12, v50, v12
	v_fma_f32 v14, v119, s5, -v157
	v_fmac_f32_e32 v67, 0x3f4178ce, v77
	v_mul_f32_e32 v105, 0xbf75a155, v105
	v_add_f32_e32 v12, v14, v12
	v_fma_f32 v14, v122, s12, -v158
	v_add_f32_e32 v66, v67, v66
	v_mov_b32_e32 v67, v105
	v_add_f32_e32 v12, v14, v12
	v_fma_f32 v14, v125, s4, -v159
	v_fmac_f32_e32 v67, 0x3e903f40, v113
	v_mul_f32_e32 v117, 0xbf0a6770, v117
	v_add_f32_e32 v12, v14, v12
	v_fma_f32 v14, v128, s2, -v160
	v_fmac_f32_e32 v161, 0xbf0a6770, v69
	v_add_f32_e32 v67, v67, v66
	v_mov_b32_e32 v66, v117
	v_mul_f32_e32 v120, 0xbf68dda4, v120
	v_add_f32_e32 v12, v14, v12
	v_add_f32_e32 v14, v51, v161
	v_fmac_f32_e32 v162, 0xbf68dda4, v71
	v_fmac_f32_e32 v66, 0x3f575c64, v116
	v_mov_b32_e32 v163, v120
	v_add_f32_e32 v14, v162, v14
	v_fmac_f32_e32 v72, 0xbf7d64f0, v74
	v_add_f32_e32 v66, v50, v66
	v_fmac_f32_e32 v163, 0x3ed4b147, v119
	v_mul_f32_e32 v123, 0xbf7d64f0, v123
	v_add_f32_e32 v14, v72, v14
	v_fmac_f32_e32 v75, 0xbf4178ce, v77
	v_add_f32_e32 v66, v163, v66
	v_mov_b32_e32 v163, v123
	v_add_f32_e32 v14, v75, v14
	v_fmac_f32_e32 v105, 0xbe903f40, v113
	v_fmac_f32_e32 v163, 0xbe11bafb, v122
	v_mul_f32_e32 v126, 0xbf4178ce, v126
	v_add_f32_e32 v15, v105, v14
	v_fma_f32 v14, v116, s2, -v117
	v_add_f32_e32 v66, v163, v66
	v_mov_b32_e32 v163, v126
	v_add_f32_e32 v14, v50, v14
	v_fma_f32 v48, v119, s3, -v120
	v_fmac_f32_e32 v163, 0xbf27a4f4, v125
	v_mul_f32_e32 v129, 0xbe903f40, v129
	v_add_f32_e32 v14, v48, v14
	v_fma_f32 v48, v122, s4, -v123
	v_add_f32_e32 v66, v163, v66
	v_mov_b32_e32 v163, v129
	v_add_f32_e32 v14, v48, v14
	v_fma_f32 v48, v125, s5, -v126
	v_fmac_f32_e32 v163, 0xbf75a155, v128
	v_add_f32_e32 v14, v48, v14
	v_fma_f32 v48, v128, s12, -v129
	v_add_f32_e32 v66, v163, v66
	v_add_f32_e32 v1, v104, v1
	;; [unrolled: 1-line block ×4, first 2 shown]
	v_lshl_add_u32 v48, v112, 3, v110
	ds_write2_b64 v48, v[0:1], v[66:67] offset1:1
	ds_write2_b64 v48, v[64:65], v[62:63] offset0:2 offset1:3
	ds_write2_b64 v48, v[60:61], v[58:59] offset0:4 offset1:5
	ds_write2_b64 v48, v[2:3], v[4:5] offset0:6 offset1:7
	ds_write2_b64 v48, v[6:7], v[12:13] offset0:8 offset1:9
	ds_write_b64 v48, v[14:15] offset:80
.LBB0_13:
	s_or_b64 exec, exec, s[0:1]
	s_waitcnt lgkmcnt(0)
	; wave barrier
	s_waitcnt lgkmcnt(0)
	ds_read2_b64 v[2:5], v108 offset1:11
	ds_read2_b64 v[12:15], v108 offset0:22 offset1:33
	ds_read2_b64 v[48:51], v108 offset0:66 offset1:77
	;; [unrolled: 1-line block ×6, first 2 shown]
	ds_read_b64 v[6:7], v108 offset:1232
	s_waitcnt lgkmcnt(6)
	v_mul_f32_e32 v52, v17, v15
	v_fmac_f32_e32 v52, v16, v14
	v_mul_f32_e32 v14, v17, v14
	v_fma_f32 v53, v16, v15, -v14
	s_waitcnt lgkmcnt(5)
	v_mul_f32_e32 v15, v19, v49
	v_mul_f32_e32 v14, v19, v48
	v_fmac_f32_e32 v15, v18, v48
	v_fma_f32 v48, v18, v49, -v14
	s_waitcnt lgkmcnt(4)
	v_mul_f32_e32 v49, v9, v59
	v_mul_f32_e32 v14, v9, v58
	v_fmac_f32_e32 v49, v8, v58
	;; [unrolled: 5-line block ×4, first 2 shown]
	v_fma_f32 v64, v16, v65, -v14
	v_mul_f32_e32 v65, v19, v51
	v_mul_f32_e32 v14, v19, v50
	v_fmac_f32_e32 v65, v18, v50
	v_fma_f32 v50, v18, v51, -v14
	s_waitcnt lgkmcnt(1)
	v_mul_f32_e32 v51, v9, v69
	v_mul_f32_e32 v9, v9, v68
	v_fmac_f32_e32 v51, v8, v68
	v_fma_f32 v68, v8, v69, -v9
	v_mul_f32_e32 v69, v11, v63
	v_mul_f32_e32 v8, v11, v62
	v_fmac_f32_e32 v69, v10, v62
	v_fma_f32 v62, v10, v63, -v8
	;; [unrolled: 4-line block ×5, first 2 shown]
	s_waitcnt lgkmcnt(0)
	v_mul_f32_e32 v71, v23, v7
	v_fmac_f32_e32 v71, v22, v6
	v_mul_f32_e32 v6, v23, v6
	v_fma_f32 v72, v22, v7, -v6
	v_add_f32_e32 v7, v15, v49
	v_fma_f32 v8, -0.5, v7, v2
	v_sub_f32_e32 v7, v53, v60
	v_mov_b32_e32 v10, v8
	v_fmac_f32_e32 v10, 0xbf737871, v7
	v_sub_f32_e32 v9, v48, v58
	v_sub_f32_e32 v11, v52, v15
	;; [unrolled: 1-line block ×3, first 2 shown]
	v_fmac_f32_e32 v8, 0x3f737871, v7
	v_fmac_f32_e32 v10, 0xbf167918, v9
	v_add_f32_e32 v11, v11, v14
	v_fmac_f32_e32 v8, 0x3f167918, v9
	v_fmac_f32_e32 v10, 0x3e9e377a, v11
	;; [unrolled: 1-line block ×3, first 2 shown]
	v_add_f32_e32 v11, v52, v59
	v_add_f32_e32 v6, v2, v52
	v_fma_f32 v2, -0.5, v11, v2
	v_mov_b32_e32 v14, v2
	v_fmac_f32_e32 v14, 0x3f737871, v9
	v_sub_f32_e32 v11, v15, v52
	v_sub_f32_e32 v16, v49, v59
	v_fmac_f32_e32 v2, 0xbf737871, v9
	v_add_f32_e32 v9, v48, v58
	v_fmac_f32_e32 v14, 0xbf167918, v7
	v_add_f32_e32 v11, v11, v16
	v_fmac_f32_e32 v2, 0x3f167918, v7
	v_fma_f32 v9, -0.5, v9, v3
	v_fmac_f32_e32 v14, 0x3e9e377a, v11
	v_fmac_f32_e32 v2, 0x3e9e377a, v11
	v_sub_f32_e32 v16, v52, v59
	v_mov_b32_e32 v11, v9
	v_add_f32_e32 v6, v6, v15
	v_fmac_f32_e32 v11, 0x3f737871, v16
	v_sub_f32_e32 v17, v15, v49
	v_sub_f32_e32 v15, v53, v48
	;; [unrolled: 1-line block ×3, first 2 shown]
	v_fmac_f32_e32 v9, 0xbf737871, v16
	v_fmac_f32_e32 v11, 0x3f167918, v17
	v_add_f32_e32 v15, v15, v18
	v_fmac_f32_e32 v9, 0xbf167918, v17
	v_fmac_f32_e32 v11, 0x3e9e377a, v15
	;; [unrolled: 1-line block ×3, first 2 shown]
	v_add_f32_e32 v15, v53, v60
	v_add_f32_e32 v7, v3, v53
	v_fma_f32 v3, -0.5, v15, v3
	v_mov_b32_e32 v15, v3
	v_fmac_f32_e32 v15, 0xbf737871, v17
	v_sub_f32_e32 v18, v48, v53
	v_sub_f32_e32 v19, v58, v60
	v_fmac_f32_e32 v3, 0x3f737871, v17
	v_fmac_f32_e32 v15, 0x3f167918, v16
	v_add_f32_e32 v18, v18, v19
	v_fmac_f32_e32 v3, 0xbf167918, v16
	v_add_f32_e32 v17, v65, v51
	v_fmac_f32_e32 v15, 0x3e9e377a, v18
	v_fmac_f32_e32 v3, 0x3e9e377a, v18
	v_fma_f32 v18, -0.5, v17, v4
	v_sub_f32_e32 v17, v64, v62
	v_mov_b32_e32 v20, v18
	v_fmac_f32_e32 v20, 0xbf737871, v17
	v_sub_f32_e32 v19, v50, v68
	v_sub_f32_e32 v21, v61, v65
	;; [unrolled: 1-line block ×3, first 2 shown]
	v_fmac_f32_e32 v18, 0x3f737871, v17
	v_fmac_f32_e32 v20, 0xbf167918, v19
	v_add_f32_e32 v21, v21, v22
	v_fmac_f32_e32 v18, 0x3f167918, v19
	v_fmac_f32_e32 v20, 0x3e9e377a, v21
	;; [unrolled: 1-line block ×3, first 2 shown]
	v_add_f32_e32 v21, v61, v69
	v_add_f32_e32 v16, v4, v61
	v_fma_f32 v4, -0.5, v21, v4
	v_mov_b32_e32 v22, v4
	v_fmac_f32_e32 v22, 0x3f737871, v19
	v_sub_f32_e32 v21, v65, v61
	v_sub_f32_e32 v23, v51, v69
	v_fmac_f32_e32 v4, 0xbf737871, v19
	v_add_f32_e32 v19, v50, v68
	v_fmac_f32_e32 v22, 0xbf167918, v17
	v_add_f32_e32 v21, v21, v23
	v_fmac_f32_e32 v4, 0x3f167918, v17
	v_fma_f32 v19, -0.5, v19, v5
	v_fmac_f32_e32 v22, 0x3e9e377a, v21
	v_fmac_f32_e32 v4, 0x3e9e377a, v21
	v_sub_f32_e32 v24, v61, v69
	v_mov_b32_e32 v21, v19
	v_fmac_f32_e32 v21, 0x3f737871, v24
	v_sub_f32_e32 v25, v65, v51
	v_sub_f32_e32 v23, v64, v50
	;; [unrolled: 1-line block ×3, first 2 shown]
	v_fmac_f32_e32 v19, 0xbf737871, v24
	v_fmac_f32_e32 v21, 0x3f167918, v25
	v_add_f32_e32 v23, v23, v26
	v_fmac_f32_e32 v19, 0xbf167918, v25
	v_fmac_f32_e32 v21, 0x3e9e377a, v23
	;; [unrolled: 1-line block ×3, first 2 shown]
	v_add_f32_e32 v23, v64, v62
	v_add_f32_e32 v17, v5, v64
	v_fmac_f32_e32 v5, -0.5, v23
	v_mov_b32_e32 v23, v5
	v_fmac_f32_e32 v23, 0xbf737871, v25
	v_sub_f32_e32 v26, v50, v64
	v_sub_f32_e32 v27, v68, v62
	v_fmac_f32_e32 v5, 0x3f737871, v25
	v_fmac_f32_e32 v23, 0x3f167918, v24
	v_add_f32_e32 v26, v26, v27
	v_fmac_f32_e32 v5, 0xbf167918, v24
	v_add_f32_e32 v25, v67, v57
	v_fmac_f32_e32 v23, 0x3e9e377a, v26
	v_fmac_f32_e32 v5, 0x3e9e377a, v26
	v_fma_f32 v26, -0.5, v25, v12
	v_add_f32_e32 v7, v7, v48
	v_sub_f32_e32 v25, v66, v72
	v_mov_b32_e32 v48, v26
	v_add_f32_e32 v6, v6, v49
	v_add_f32_e32 v17, v17, v50
	v_fmac_f32_e32 v48, 0xbf737871, v25
	v_sub_f32_e32 v27, v56, v70
	v_sub_f32_e32 v49, v63, v67
	v_sub_f32_e32 v50, v71, v57
	v_fmac_f32_e32 v26, 0x3f737871, v25
	v_fmac_f32_e32 v48, 0xbf167918, v27
	v_add_f32_e32 v49, v49, v50
	v_fmac_f32_e32 v26, 0x3f167918, v27
	v_fmac_f32_e32 v48, 0x3e9e377a, v49
	;; [unrolled: 1-line block ×3, first 2 shown]
	v_add_f32_e32 v49, v63, v71
	v_add_f32_e32 v24, v12, v63
	v_fma_f32 v12, -0.5, v49, v12
	v_add_f32_e32 v16, v16, v65
	v_mov_b32_e32 v50, v12
	v_add_f32_e32 v16, v16, v51
	v_fmac_f32_e32 v50, 0x3f737871, v27
	v_sub_f32_e32 v49, v67, v63
	v_sub_f32_e32 v51, v57, v71
	v_fmac_f32_e32 v12, 0xbf737871, v27
	v_add_f32_e32 v27, v56, v70
	v_fmac_f32_e32 v50, 0xbf167918, v25
	v_add_f32_e32 v49, v49, v51
	v_fmac_f32_e32 v12, 0x3f167918, v25
	v_fma_f32 v27, -0.5, v27, v13
	v_add_f32_e32 v24, v24, v67
	v_fmac_f32_e32 v50, 0x3e9e377a, v49
	v_fmac_f32_e32 v12, 0x3e9e377a, v49
	v_sub_f32_e32 v52, v63, v71
	v_mov_b32_e32 v49, v27
	v_add_f32_e32 v24, v24, v57
	v_fmac_f32_e32 v49, 0x3f737871, v52
	v_sub_f32_e32 v53, v67, v57
	v_sub_f32_e32 v51, v66, v56
	v_sub_f32_e32 v57, v72, v70
	v_fmac_f32_e32 v27, 0xbf737871, v52
	v_fmac_f32_e32 v49, 0x3f167918, v53
	v_add_f32_e32 v51, v51, v57
	v_fmac_f32_e32 v27, 0xbf167918, v53
	v_fmac_f32_e32 v49, 0x3e9e377a, v51
	;; [unrolled: 1-line block ×3, first 2 shown]
	v_add_f32_e32 v51, v66, v72
	v_add_f32_e32 v25, v13, v66
	v_fmac_f32_e32 v13, -0.5, v51
	v_mov_b32_e32 v51, v13
	v_add_f32_e32 v25, v25, v56
	v_fmac_f32_e32 v51, 0xbf737871, v53
	v_sub_f32_e32 v56, v56, v66
	v_sub_f32_e32 v57, v70, v72
	v_fmac_f32_e32 v13, 0x3f737871, v53
	v_add_f32_e32 v7, v7, v58
	v_add_f32_e32 v17, v17, v68
	;; [unrolled: 1-line block ×3, first 2 shown]
	v_fmac_f32_e32 v51, 0x3f167918, v52
	v_add_f32_e32 v56, v56, v57
	v_fmac_f32_e32 v13, 0xbf167918, v52
	v_add_f32_e32 v6, v6, v59
	v_add_f32_e32 v7, v7, v60
	;; [unrolled: 1-line block ×6, first 2 shown]
	v_fmac_f32_e32 v51, 0x3e9e377a, v56
	v_fmac_f32_e32 v13, 0x3e9e377a, v56
	s_waitcnt lgkmcnt(0)
	; wave barrier
	ds_write2_b64 v108, v[6:7], v[10:11] offset1:11
	ds_write2_b64 v108, v[14:15], v[2:3] offset0:22 offset1:33
	ds_write2_b64 v108, v[8:9], v[16:17] offset0:44 offset1:55
	;; [unrolled: 1-line block ×6, first 2 shown]
	ds_write_b64 v114, v[26:27] offset:1232
	s_waitcnt lgkmcnt(0)
	; wave barrier
	s_waitcnt lgkmcnt(0)
	ds_read2_b64 v[2:5], v108 offset1:11
	ds_read2_b64 v[6:9], v108 offset0:44 offset1:55
	ds_read2_b64 v[10:13], v108 offset0:110 offset1:121
	;; [unrolled: 1-line block ×6, first 2 shown]
	ds_read_b64 v[26:27], v108 offset:1232
	s_waitcnt lgkmcnt(6)
	v_mul_f32_e32 v52, v29, v9
	v_fmac_f32_e32 v52, v28, v8
	v_mul_f32_e32 v8, v29, v8
	v_fma_f32 v28, v28, v9, -v8
	s_waitcnt lgkmcnt(5)
	v_mul_f32_e32 v8, v31, v10
	v_mul_f32_e32 v29, v31, v11
	v_fma_f32 v11, v30, v11, -v8
	s_waitcnt lgkmcnt(4)
	v_mul_f32_e32 v8, v33, v14
	v_fmac_f32_e32 v29, v30, v10
	v_mul_f32_e32 v30, v33, v15
	v_fma_f32 v15, v32, v15, -v8
	v_mul_f32_e32 v8, v35, v12
	v_fmac_f32_e32 v30, v32, v14
	v_mul_f32_e32 v31, v35, v13
	v_fma_f32 v32, v34, v13, -v8
	v_mul_f32_e32 v8, v37, v16
	v_fmac_f32_e32 v31, v34, v12
	v_fma_f32 v34, v36, v17, -v8
	s_waitcnt lgkmcnt(2)
	v_mul_f32_e32 v8, v39, v22
	v_mul_f32_e32 v35, v39, v23
	v_fma_f32 v23, v38, v23, -v8
	s_waitcnt lgkmcnt(1)
	v_mul_f32_e32 v8, v41, v48
	v_mul_f32_e32 v33, v37, v17
	v_fma_f32 v37, v40, v49, -v8
	v_mul_f32_e32 v8, v43, v24
	v_fma_f32 v39, v42, v25, -v8
	v_mul_f32_e32 v8, v45, v50
	v_fmac_f32_e32 v33, v36, v16
	v_mul_f32_e32 v36, v41, v49
	v_fma_f32 v41, v44, v51, -v8
	s_waitcnt lgkmcnt(0)
	v_mul_f32_e32 v8, v47, v26
	v_add_f32_e32 v9, v52, v29
	v_fmac_f32_e32 v35, v38, v22
	v_mul_f32_e32 v38, v43, v25
	v_fma_f32 v43, v46, v27, -v8
	v_add_f32_e32 v8, v2, v52
	v_fma_f32 v2, -0.5, v9, v2
	v_sub_f32_e32 v9, v28, v11
	v_mov_b32_e32 v10, v2
	v_fmac_f32_e32 v10, 0xbf5db3d7, v9
	v_fmac_f32_e32 v2, 0x3f5db3d7, v9
	v_add_f32_e32 v9, v3, v28
	v_add_f32_e32 v9, v9, v11
	;; [unrolled: 1-line block ×3, first 2 shown]
	v_fma_f32 v3, -0.5, v11, v3
	v_sub_f32_e32 v12, v52, v29
	v_mov_b32_e32 v11, v3
	v_add_f32_e32 v13, v30, v31
	v_fmac_f32_e32 v11, 0x3f5db3d7, v12
	v_fmac_f32_e32 v3, 0xbf5db3d7, v12
	v_add_f32_e32 v12, v4, v30
	v_fma_f32 v4, -0.5, v13, v4
	v_sub_f32_e32 v13, v15, v32
	v_mov_b32_e32 v14, v4
	v_fmac_f32_e32 v14, 0xbf5db3d7, v13
	v_fmac_f32_e32 v4, 0x3f5db3d7, v13
	v_add_f32_e32 v13, v5, v15
	v_add_f32_e32 v15, v15, v32
	v_fmac_f32_e32 v5, -0.5, v15
	v_sub_f32_e32 v16, v30, v31
	v_mov_b32_e32 v15, v5
	v_add_f32_e32 v17, v33, v35
	v_fmac_f32_e32 v15, 0x3f5db3d7, v16
	v_fmac_f32_e32 v5, 0xbf5db3d7, v16
	v_add_f32_e32 v16, v18, v33
	v_fma_f32 v18, -0.5, v17, v18
	v_sub_f32_e32 v17, v34, v23
	v_mov_b32_e32 v22, v18
	v_fmac_f32_e32 v22, 0xbf5db3d7, v17
	v_fmac_f32_e32 v18, 0x3f5db3d7, v17
	v_add_f32_e32 v17, v19, v34
	v_add_f32_e32 v17, v17, v23
	;; [unrolled: 1-line block ×3, first 2 shown]
	v_fmac_f32_e32 v36, v40, v48
	v_fmac_f32_e32 v38, v42, v24
	v_fma_f32 v19, -0.5, v23, v19
	v_sub_f32_e32 v24, v33, v35
	v_mov_b32_e32 v23, v19
	v_add_f32_e32 v25, v36, v38
	v_mul_f32_e32 v42, v47, v27
	v_fmac_f32_e32 v23, 0x3f5db3d7, v24
	v_fmac_f32_e32 v19, 0xbf5db3d7, v24
	v_add_f32_e32 v24, v20, v36
	v_fma_f32 v20, -0.5, v25, v20
	v_mul_f32_e32 v40, v45, v51
	v_fmac_f32_e32 v42, v46, v26
	v_sub_f32_e32 v25, v37, v39
	v_mov_b32_e32 v26, v20
	v_add_f32_e32 v27, v37, v39
	v_fmac_f32_e32 v40, v44, v50
	v_fmac_f32_e32 v26, 0xbf5db3d7, v25
	;; [unrolled: 1-line block ×3, first 2 shown]
	v_add_f32_e32 v25, v21, v37
	v_fmac_f32_e32 v21, -0.5, v27
	v_add_f32_e32 v8, v8, v29
	v_sub_f32_e32 v28, v36, v38
	v_mov_b32_e32 v27, v21
	v_add_f32_e32 v29, v40, v42
	v_fmac_f32_e32 v27, 0x3f5db3d7, v28
	v_fmac_f32_e32 v21, 0xbf5db3d7, v28
	v_add_f32_e32 v28, v6, v40
	v_fma_f32 v6, -0.5, v29, v6
	v_add_f32_e32 v12, v12, v31
	v_sub_f32_e32 v29, v41, v43
	v_mov_b32_e32 v30, v6
	v_add_f32_e32 v31, v41, v43
	v_fmac_f32_e32 v30, 0xbf5db3d7, v29
	v_fmac_f32_e32 v6, 0x3f5db3d7, v29
	v_add_f32_e32 v29, v7, v41
	v_fmac_f32_e32 v7, -0.5, v31
	v_add_f32_e32 v13, v13, v32
	v_sub_f32_e32 v32, v40, v42
	v_mov_b32_e32 v31, v7
	v_add_f32_e32 v16, v16, v35
	v_add_f32_e32 v24, v24, v38
	v_add_f32_e32 v25, v25, v39
	v_add_f32_e32 v28, v28, v42
	v_add_f32_e32 v29, v29, v43
	v_fmac_f32_e32 v31, 0x3f5db3d7, v32
	v_fmac_f32_e32 v7, 0xbf5db3d7, v32
	ds_write_b64 v108, v[8:9]
	ds_write2_b64 v111, v[10:11], v[14:15] offset0:55 offset1:66
	ds_write2_b64 v111, v[2:3], v[4:5] offset0:110 offset1:121
	ds_write2_b64 v111, v[12:13], v[16:17] offset0:11 offset1:22
	ds_write2_b64 v115, v[22:23], v[18:19] offset0:55 offset1:110
	ds_write_b64 v111, v[24:25] offset:264
	ds_write2_b64 v55, v[26:27], v[20:21] offset0:55 offset1:110
	ds_write_b64 v111, v[28:29] offset:352
	ds_write2_b64 v54, v[30:31], v[6:7] offset0:55 offset1:110
	s_waitcnt lgkmcnt(0)
	; wave barrier
	s_waitcnt lgkmcnt(0)
	ds_read2_b64 v[2:5], v108 offset1:15
	s_mov_b32 s2, 0x8d3018d3
	s_mov_b32 s3, 0x3f78d301
	v_mad_u64_u32 v[0:1], s[0:1], s10, v88, 0
	s_waitcnt lgkmcnt(0)
	v_mul_f32_e32 v6, v100, v3
	v_fmac_f32_e32 v6, v99, v2
	v_mul_f32_e32 v2, v100, v2
	v_fma_f32 v2, v99, v3, -v2
	v_cvt_f64_f32_e32 v[2:3], v2
	v_cvt_f64_f32_e32 v[6:7], v6
	v_mad_u64_u32 v[8:9], s[0:1], s8, v107, 0
	v_mul_f64 v[2:3], v[2:3], s[2:3]
	v_mul_f64 v[6:7], v[6:7], s[2:3]
	v_mad_u64_u32 v[10:11], s[0:1], s11, v88, v[1:2]
	v_mov_b32_e32 v1, v9
	v_mad_u64_u32 v[11:12], s[0:1], s9, v107, v[1:2]
	v_cvt_f32_f64_e32 v6, v[6:7]
	v_cvt_f32_f64_e32 v7, v[2:3]
	v_mul_f32_e32 v2, v102, v5
	v_fmac_f32_e32 v2, v101, v4
	v_mov_b32_e32 v1, v10
	v_mov_b32_e32 v9, v11
	v_cvt_f64_f32_e32 v[10:11], v2
	v_mul_f32_e32 v2, v102, v4
	v_fma_f32 v2, v101, v5, -v2
	v_cvt_f64_f32_e32 v[4:5], v2
	v_lshlrev_b64 v[0:1], 3, v[0:1]
	v_mov_b32_e32 v3, s7
	v_add_co_u32_e64 v2, s[0:1], s6, v0
	v_lshlrev_b64 v[8:9], 3, v[8:9]
	v_addc_co_u32_e64 v3, s[0:1], v3, v1, s[0:1]
	v_mul_f64 v[0:1], v[10:11], s[2:3]
	v_mul_f64 v[10:11], v[4:5], s[2:3]
	v_add_co_u32_e64 v8, s[0:1], v2, v8
	v_addc_co_u32_e64 v9, s[0:1], v3, v9, s[0:1]
	global_store_dwordx2 v[8:9], v[6:7], off
	ds_read2_b64 v[4:7], v108 offset0:30 offset1:45
	v_cvt_f32_f64_e32 v0, v[0:1]
	v_cvt_f32_f64_e32 v1, v[10:11]
	s_mul_i32 s0, s9, 15
	s_mul_hi_u32 s1, s8, 15
	s_waitcnt lgkmcnt(0)
	v_mul_f32_e32 v10, v98, v5
	v_fmac_f32_e32 v10, v97, v4
	v_mul_f32_e32 v4, v98, v4
	v_fma_f32 v4, v97, v5, -v4
	v_cvt_f64_f32_e32 v[4:5], v4
	v_cvt_f64_f32_e32 v[10:11], v10
	s_add_i32 s1, s1, s0
	s_mul_i32 s0, s8, 15
	v_mul_f64 v[4:5], v[4:5], s[2:3]
	v_mul_f64 v[10:11], v[10:11], s[2:3]
	s_lshl_b64 s[4:5], s[0:1], 3
	v_mov_b32_e32 v16, s5
	v_add_co_u32_e64 v8, s[0:1], s4, v8
	v_addc_co_u32_e64 v9, s[0:1], v9, v16, s[0:1]
	global_store_dwordx2 v[8:9], v[0:1], off
	v_cvt_f32_f64_e32 v1, v[4:5]
	v_mul_f32_e32 v4, v94, v7
	v_fmac_f32_e32 v4, v93, v6
	v_cvt_f32_f64_e32 v0, v[10:11]
	v_cvt_f64_f32_e32 v[10:11], v4
	v_mul_f32_e32 v4, v94, v6
	v_fma_f32 v4, v93, v7, -v4
	v_cvt_f64_f32_e32 v[12:13], v4
	ds_read2_b64 v[4:7], v108 offset0:60 offset1:75
	v_mul_f64 v[10:11], v[10:11], s[2:3]
	v_add_co_u32_e64 v8, s[0:1], s4, v8
	v_mul_f64 v[12:13], v[12:13], s[2:3]
	s_waitcnt lgkmcnt(0)
	v_mul_f32_e32 v14, v96, v5
	v_fmac_f32_e32 v14, v95, v4
	v_mul_f32_e32 v4, v96, v4
	v_fma_f32 v4, v95, v5, -v4
	v_cvt_f64_f32_e32 v[4:5], v4
	v_cvt_f64_f32_e32 v[14:15], v14
	v_addc_co_u32_e64 v9, s[0:1], v9, v16, s[0:1]
	v_mul_f64 v[4:5], v[4:5], s[2:3]
	global_store_dwordx2 v[8:9], v[0:1], off
	v_cvt_f32_f64_e32 v0, v[10:11]
	v_mul_f64 v[10:11], v[14:15], s[2:3]
	v_cvt_f32_f64_e32 v1, v[12:13]
	v_add_co_u32_e64 v8, s[0:1], s4, v8
	v_addc_co_u32_e64 v9, s[0:1], v9, v16, s[0:1]
	global_store_dwordx2 v[8:9], v[0:1], off
	v_cvt_f32_f64_e32 v1, v[4:5]
	v_mul_f32_e32 v4, v90, v7
	v_fmac_f32_e32 v4, v89, v6
	v_cvt_f32_f64_e32 v0, v[10:11]
	v_cvt_f64_f32_e32 v[10:11], v4
	v_mul_f32_e32 v4, v90, v6
	v_fma_f32 v4, v89, v7, -v4
	v_cvt_f64_f32_e32 v[12:13], v4
	ds_read2_b64 v[4:7], v108 offset0:90 offset1:105
	v_mul_f64 v[10:11], v[10:11], s[2:3]
	v_add_co_u32_e64 v8, s[0:1], s4, v8
	v_mul_f64 v[12:13], v[12:13], s[2:3]
	s_waitcnt lgkmcnt(0)
	v_mul_f32_e32 v14, v92, v5
	v_fmac_f32_e32 v14, v91, v4
	v_mul_f32_e32 v4, v92, v4
	v_fma_f32 v4, v91, v5, -v4
	v_cvt_f64_f32_e32 v[4:5], v4
	v_cvt_f64_f32_e32 v[14:15], v14
	v_addc_co_u32_e64 v9, s[0:1], v9, v16, s[0:1]
	v_mul_f64 v[4:5], v[4:5], s[2:3]
	global_store_dwordx2 v[8:9], v[0:1], off
	v_cvt_f32_f64_e32 v0, v[10:11]
	v_mul_f64 v[10:11], v[14:15], s[2:3]
	v_cvt_f32_f64_e32 v1, v[12:13]
	;; [unrolled: 28-line block ×3, first 2 shown]
	v_add_co_u32_e64 v8, s[0:1], s4, v8
	v_addc_co_u32_e64 v9, s[0:1], v9, v16, s[0:1]
	global_store_dwordx2 v[8:9], v[0:1], off
	v_cvt_f32_f64_e32 v1, v[4:5]
	v_mul_f32_e32 v4, v83, v7
	v_fmac_f32_e32 v4, v82, v6
	v_cvt_f32_f64_e32 v0, v[10:11]
	v_cvt_f64_f32_e32 v[4:5], v4
	ds_read_b64 v[10:11], v108 offset:1200
	v_mul_f32_e32 v6, v83, v6
	v_fma_f32 v6, v82, v7, -v6
	v_mul_f64 v[4:5], v[4:5], s[2:3]
	v_cvt_f64_f32_e32 v[6:7], v6
	s_waitcnt lgkmcnt(0)
	v_mul_f32_e32 v12, v81, v11
	v_fmac_f32_e32 v12, v80, v10
	v_mul_f32_e32 v10, v81, v10
	v_fma_f32 v10, v80, v11, -v10
	v_cvt_f64_f32_e32 v[12:13], v12
	v_cvt_f64_f32_e32 v[10:11], v10
	v_add_co_u32_e64 v8, s[0:1], s4, v8
	v_mul_f64 v[6:7], v[6:7], s[2:3]
	v_addc_co_u32_e64 v9, s[0:1], v9, v16, s[0:1]
	global_store_dwordx2 v[8:9], v[0:1], off
	v_cvt_f32_f64_e32 v0, v[4:5]
	v_mul_f64 v[4:5], v[12:13], s[2:3]
	v_mul_f64 v[10:11], v[10:11], s[2:3]
	v_cvt_f32_f64_e32 v1, v[6:7]
	v_add_co_u32_e64 v6, s[0:1], s4, v8
	v_addc_co_u32_e64 v7, s[0:1], v9, v16, s[0:1]
	v_cvt_f32_f64_e32 v4, v[4:5]
	v_cvt_f32_f64_e32 v5, v[10:11]
	global_store_dwordx2 v[6:7], v[0:1], off
	v_add_co_u32_e64 v0, s[0:1], s4, v6
	v_addc_co_u32_e64 v1, s[0:1], v7, v16, s[0:1]
	global_store_dwordx2 v[0:1], v[4:5], off
	s_and_b64 exec, exec, vcc
	s_cbranch_execz .LBB0_15
; %bb.14:
	global_load_dwordx2 v[4:5], v[78:79], off offset:88
	ds_read_b64 v[6:7], v111 offset:88
	v_mov_b32_e32 v13, s5
	v_mov_b32_e32 v14, 0xf0
	s_mul_i32 s5, s9, 0xf0
	s_waitcnt vmcnt(0) lgkmcnt(0)
	v_mul_f32_e32 v8, v7, v5
	v_mul_f32_e32 v5, v6, v5
	v_fmac_f32_e32 v8, v6, v4
	v_fma_f32 v6, v4, v7, -v5
	v_cvt_f64_f32_e32 v[4:5], v8
	v_cvt_f64_f32_e32 v[6:7], v6
	v_mov_b32_e32 v8, 0xfffffba8
	v_mad_u64_u32 v[0:1], s[0:1], s8, v8, v[0:1]
	v_mul_f64 v[4:5], v[4:5], s[2:3]
	v_mul_f64 v[6:7], v[6:7], s[2:3]
	s_mul_i32 s0, s9, 0xfffffba8
	s_sub_i32 s0, s0, s8
	v_add_u32_e32 v1, s0, v1
	v_cvt_f32_f64_e32 v4, v[4:5]
	v_cvt_f32_f64_e32 v5, v[6:7]
	global_store_dwordx2 v[0:1], v[4:5], off
	global_load_dwordx2 v[8:9], v[78:79], off offset:208
	ds_read2_b64 v[4:7], v108 offset0:26 offset1:41
	v_add_co_u32_e32 v0, vcc, s4, v0
	v_addc_co_u32_e32 v1, vcc, v1, v13, vcc
	s_waitcnt vmcnt(0) lgkmcnt(0)
	v_mul_f32_e32 v10, v5, v9
	v_mul_f32_e32 v9, v4, v9
	v_fmac_f32_e32 v10, v4, v8
	v_fma_f32 v8, v8, v5, -v9
	v_cvt_f64_f32_e32 v[4:5], v10
	v_cvt_f64_f32_e32 v[8:9], v8
	v_mad_u64_u32 v[10:11], s[0:1], s8, v109, 0
	v_mul_f64 v[4:5], v[4:5], s[2:3]
	v_mul_f64 v[8:9], v[8:9], s[2:3]
	v_cvt_f32_f64_e32 v4, v[4:5]
	v_cvt_f32_f64_e32 v5, v[8:9]
	global_store_dwordx2 v[0:1], v[4:5], off
	global_load_dwordx2 v[4:5], v[78:79], off offset:328
	v_add_co_u32_e32 v0, vcc, s4, v0
	v_addc_co_u32_e32 v1, vcc, v1, v13, vcc
	s_waitcnt vmcnt(0)
	v_mul_f32_e32 v8, v7, v5
	v_mul_f32_e32 v5, v6, v5
	v_fmac_f32_e32 v8, v6, v4
	v_fma_f32 v6, v4, v7, -v5
	v_cvt_f64_f32_e32 v[4:5], v8
	v_cvt_f64_f32_e32 v[6:7], v6
	v_mul_f64 v[4:5], v[4:5], s[2:3]
	v_mul_f64 v[6:7], v[6:7], s[2:3]
	v_cvt_f32_f64_e32 v4, v[4:5]
	v_cvt_f32_f64_e32 v5, v[6:7]
	global_store_dwordx2 v[0:1], v[4:5], off
	global_load_dwordx2 v[8:9], v[78:79], off offset:448
	ds_read2_b64 v[4:7], v108 offset0:56 offset1:71
	v_mad_u64_u32 v[0:1], s[0:1], s8, v14, v[0:1]
	v_add_u32_e32 v1, s5, v1
	s_waitcnt vmcnt(0) lgkmcnt(0)
	v_mul_f32_e32 v12, v5, v9
	v_mul_f32_e32 v9, v4, v9
	v_fmac_f32_e32 v12, v4, v8
	v_fma_f32 v8, v8, v5, -v9
	v_cvt_f64_f32_e32 v[4:5], v12
	v_cvt_f64_f32_e32 v[8:9], v8
	v_mad_u64_u32 v[11:12], s[0:1], s9, v109, v[11:12]
	v_mul_f64 v[4:5], v[4:5], s[2:3]
	v_mul_f64 v[8:9], v[8:9], s[2:3]
	v_lshlrev_b64 v[10:11], 3, v[10:11]
	v_or_b32_e32 v12, 0x74, v107
	v_cvt_f32_f64_e32 v4, v[4:5]
	v_cvt_f32_f64_e32 v5, v[8:9]
	v_add_co_u32_e32 v8, vcc, v2, v10
	v_addc_co_u32_e32 v9, vcc, v3, v11, vcc
	global_store_dwordx2 v[8:9], v[4:5], off
	global_load_dwordx2 v[4:5], v[78:79], off offset:568
	s_waitcnt vmcnt(0)
	v_mul_f32_e32 v8, v7, v5
	v_mul_f32_e32 v5, v6, v5
	v_fmac_f32_e32 v8, v6, v4
	v_fma_f32 v6, v4, v7, -v5
	v_cvt_f64_f32_e32 v[4:5], v8
	v_cvt_f64_f32_e32 v[6:7], v6
	v_mul_f64 v[4:5], v[4:5], s[2:3]
	v_mul_f64 v[6:7], v[6:7], s[2:3]
	v_cvt_f32_f64_e32 v4, v[4:5]
	v_cvt_f32_f64_e32 v5, v[6:7]
	global_store_dwordx2 v[0:1], v[4:5], off
	global_load_dwordx2 v[8:9], v[78:79], off offset:688
	ds_read2_b64 v[4:7], v108 offset0:86 offset1:101
	v_add_co_u32_e32 v0, vcc, s4, v0
	v_addc_co_u32_e32 v1, vcc, v1, v13, vcc
	s_waitcnt vmcnt(0) lgkmcnt(0)
	v_mul_f32_e32 v10, v5, v9
	v_mul_f32_e32 v9, v4, v9
	v_fmac_f32_e32 v10, v4, v8
	v_fma_f32 v8, v8, v5, -v9
	v_cvt_f64_f32_e32 v[4:5], v10
	v_cvt_f64_f32_e32 v[8:9], v8
	v_mad_u64_u32 v[10:11], s[0:1], s8, v12, 0
	v_mul_f64 v[4:5], v[4:5], s[2:3]
	v_mul_f64 v[8:9], v[8:9], s[2:3]
	v_mad_u64_u32 v[11:12], s[0:1], s9, v12, v[11:12]
	v_lshlrev_b64 v[10:11], 3, v[10:11]
	v_cvt_f32_f64_e32 v4, v[4:5]
	v_cvt_f32_f64_e32 v5, v[8:9]
	global_store_dwordx2 v[0:1], v[4:5], off
	global_load_dwordx2 v[4:5], v[78:79], off offset:808
	v_add_co_u32_e32 v0, vcc, s4, v0
	v_addc_co_u32_e32 v1, vcc, v1, v13, vcc
	v_add_co_u32_e32 v2, vcc, v2, v10
	v_addc_co_u32_e32 v3, vcc, v3, v11, vcc
	s_waitcnt vmcnt(0)
	v_mul_f32_e32 v8, v7, v5
	v_mul_f32_e32 v5, v6, v5
	v_fmac_f32_e32 v8, v6, v4
	v_fma_f32 v6, v4, v7, -v5
	v_cvt_f64_f32_e32 v[4:5], v8
	v_cvt_f64_f32_e32 v[6:7], v6
	v_mul_f64 v[4:5], v[4:5], s[2:3]
	v_mul_f64 v[6:7], v[6:7], s[2:3]
	v_cvt_f32_f64_e32 v4, v[4:5]
	v_cvt_f32_f64_e32 v5, v[6:7]
	global_store_dwordx2 v[0:1], v[4:5], off
	global_load_dwordx2 v[8:9], v[78:79], off offset:928
	ds_read2_b64 v[4:7], v108 offset0:116 offset1:131
	s_waitcnt vmcnt(0) lgkmcnt(0)
	v_mul_f32_e32 v15, v5, v9
	v_mul_f32_e32 v9, v4, v9
	v_fmac_f32_e32 v15, v4, v8
	v_fma_f32 v8, v8, v5, -v9
	v_cvt_f64_f32_e32 v[4:5], v15
	v_cvt_f64_f32_e32 v[8:9], v8
	v_mul_f64 v[4:5], v[4:5], s[2:3]
	v_mul_f64 v[8:9], v[8:9], s[2:3]
	v_cvt_f32_f64_e32 v4, v[4:5]
	v_cvt_f32_f64_e32 v5, v[8:9]
	global_store_dwordx2 v[2:3], v[4:5], off
	global_load_dwordx2 v[2:3], v[78:79], off offset:1048
	s_waitcnt vmcnt(0)
	v_mul_f32_e32 v4, v7, v3
	v_mul_f32_e32 v3, v6, v3
	v_fmac_f32_e32 v4, v6, v2
	v_fma_f32 v5, v2, v7, -v3
	v_cvt_f64_f32_e32 v[2:3], v4
	v_cvt_f64_f32_e32 v[4:5], v5
	v_mad_u64_u32 v[6:7], s[0:1], s8, v14, v[0:1]
	v_mul_f64 v[2:3], v[2:3], s[2:3]
	v_mul_f64 v[4:5], v[4:5], s[2:3]
	v_add_u32_e32 v7, s5, v7
	v_cvt_f32_f64_e32 v0, v[2:3]
	v_cvt_f32_f64_e32 v1, v[4:5]
	global_store_dwordx2 v[6:7], v[0:1], off
	global_load_dwordx2 v[4:5], v[78:79], off offset:1168
	ds_read2_b64 v[0:3], v108 offset0:146 offset1:161
	s_waitcnt vmcnt(0) lgkmcnt(0)
	v_mul_f32_e32 v8, v1, v5
	v_mul_f32_e32 v5, v0, v5
	v_fmac_f32_e32 v8, v0, v4
	v_fma_f32 v4, v4, v1, -v5
	v_cvt_f64_f32_e32 v[0:1], v8
	v_cvt_f64_f32_e32 v[4:5], v4
	v_mul_f64 v[0:1], v[0:1], s[2:3]
	v_mul_f64 v[4:5], v[4:5], s[2:3]
	v_cvt_f32_f64_e32 v0, v[0:1]
	v_cvt_f32_f64_e32 v1, v[4:5]
	v_add_co_u32_e32 v4, vcc, s4, v6
	v_addc_co_u32_e32 v5, vcc, v7, v13, vcc
	global_store_dwordx2 v[4:5], v[0:1], off
	global_load_dwordx2 v[0:1], v[78:79], off offset:1288
	s_waitcnt vmcnt(0)
	v_mul_f32_e32 v6, v3, v1
	v_mul_f32_e32 v1, v2, v1
	v_fmac_f32_e32 v6, v2, v0
	v_fma_f32 v2, v0, v3, -v1
	v_cvt_f64_f32_e32 v[0:1], v6
	v_cvt_f64_f32_e32 v[2:3], v2
	v_mul_f64 v[0:1], v[0:1], s[2:3]
	v_mul_f64 v[2:3], v[2:3], s[2:3]
	v_cvt_f32_f64_e32 v0, v[0:1]
	v_cvt_f32_f64_e32 v1, v[2:3]
	v_add_co_u32_e32 v2, vcc, s4, v4
	v_addc_co_u32_e32 v3, vcc, v5, v13, vcc
	global_store_dwordx2 v[2:3], v[0:1], off
.LBB0_15:
	s_endpgm
	.section	.rodata,"a",@progbits
	.p2align	6, 0x0
	.amdhsa_kernel bluestein_single_fwd_len165_dim1_sp_op_CI_CI
		.amdhsa_group_segment_fixed_size 6600
		.amdhsa_private_segment_fixed_size 0
		.amdhsa_kernarg_size 104
		.amdhsa_user_sgpr_count 6
		.amdhsa_user_sgpr_private_segment_buffer 1
		.amdhsa_user_sgpr_dispatch_ptr 0
		.amdhsa_user_sgpr_queue_ptr 0
		.amdhsa_user_sgpr_kernarg_segment_ptr 1
		.amdhsa_user_sgpr_dispatch_id 0
		.amdhsa_user_sgpr_flat_scratch_init 0
		.amdhsa_user_sgpr_private_segment_size 0
		.amdhsa_uses_dynamic_stack 0
		.amdhsa_system_sgpr_private_segment_wavefront_offset 0
		.amdhsa_system_sgpr_workgroup_id_x 1
		.amdhsa_system_sgpr_workgroup_id_y 0
		.amdhsa_system_sgpr_workgroup_id_z 0
		.amdhsa_system_sgpr_workgroup_info 0
		.amdhsa_system_vgpr_workitem_id 0
		.amdhsa_next_free_vgpr 164
		.amdhsa_next_free_sgpr 18
		.amdhsa_reserve_vcc 1
		.amdhsa_reserve_flat_scratch 0
		.amdhsa_float_round_mode_32 0
		.amdhsa_float_round_mode_16_64 0
		.amdhsa_float_denorm_mode_32 3
		.amdhsa_float_denorm_mode_16_64 3
		.amdhsa_dx10_clamp 1
		.amdhsa_ieee_mode 1
		.amdhsa_fp16_overflow 0
		.amdhsa_exception_fp_ieee_invalid_op 0
		.amdhsa_exception_fp_denorm_src 0
		.amdhsa_exception_fp_ieee_div_zero 0
		.amdhsa_exception_fp_ieee_overflow 0
		.amdhsa_exception_fp_ieee_underflow 0
		.amdhsa_exception_fp_ieee_inexact 0
		.amdhsa_exception_int_div_zero 0
	.end_amdhsa_kernel
	.text
.Lfunc_end0:
	.size	bluestein_single_fwd_len165_dim1_sp_op_CI_CI, .Lfunc_end0-bluestein_single_fwd_len165_dim1_sp_op_CI_CI
                                        ; -- End function
	.section	.AMDGPU.csdata,"",@progbits
; Kernel info:
; codeLenInByte = 17840
; NumSgprs: 22
; NumVgprs: 164
; ScratchSize: 0
; MemoryBound: 0
; FloatMode: 240
; IeeeMode: 1
; LDSByteSize: 6600 bytes/workgroup (compile time only)
; SGPRBlocks: 2
; VGPRBlocks: 40
; NumSGPRsForWavesPerEU: 22
; NumVGPRsForWavesPerEU: 164
; Occupancy: 1
; WaveLimiterHint : 1
; COMPUTE_PGM_RSRC2:SCRATCH_EN: 0
; COMPUTE_PGM_RSRC2:USER_SGPR: 6
; COMPUTE_PGM_RSRC2:TRAP_HANDLER: 0
; COMPUTE_PGM_RSRC2:TGID_X_EN: 1
; COMPUTE_PGM_RSRC2:TGID_Y_EN: 0
; COMPUTE_PGM_RSRC2:TGID_Z_EN: 0
; COMPUTE_PGM_RSRC2:TIDIG_COMP_CNT: 0
	.type	__hip_cuid_4d188c00d6c0e5bb,@object ; @__hip_cuid_4d188c00d6c0e5bb
	.section	.bss,"aw",@nobits
	.globl	__hip_cuid_4d188c00d6c0e5bb
__hip_cuid_4d188c00d6c0e5bb:
	.byte	0                               ; 0x0
	.size	__hip_cuid_4d188c00d6c0e5bb, 1

	.ident	"AMD clang version 19.0.0git (https://github.com/RadeonOpenCompute/llvm-project roc-6.4.0 25133 c7fe45cf4b819c5991fe208aaa96edf142730f1d)"
	.section	".note.GNU-stack","",@progbits
	.addrsig
	.addrsig_sym __hip_cuid_4d188c00d6c0e5bb
	.amdgpu_metadata
---
amdhsa.kernels:
  - .args:
      - .actual_access:  read_only
        .address_space:  global
        .offset:         0
        .size:           8
        .value_kind:     global_buffer
      - .actual_access:  read_only
        .address_space:  global
        .offset:         8
        .size:           8
        .value_kind:     global_buffer
      - .actual_access:  read_only
        .address_space:  global
        .offset:         16
        .size:           8
        .value_kind:     global_buffer
      - .actual_access:  read_only
        .address_space:  global
        .offset:         24
        .size:           8
        .value_kind:     global_buffer
      - .actual_access:  read_only
        .address_space:  global
        .offset:         32
        .size:           8
        .value_kind:     global_buffer
      - .offset:         40
        .size:           8
        .value_kind:     by_value
      - .address_space:  global
        .offset:         48
        .size:           8
        .value_kind:     global_buffer
      - .address_space:  global
        .offset:         56
        .size:           8
        .value_kind:     global_buffer
      - .address_space:  global
        .offset:         64
        .size:           8
        .value_kind:     global_buffer
      - .address_space:  global
        .offset:         72
        .size:           8
        .value_kind:     global_buffer
      - .offset:         80
        .size:           4
        .value_kind:     by_value
      - .address_space:  global
        .offset:         88
        .size:           8
        .value_kind:     global_buffer
      - .address_space:  global
        .offset:         96
        .size:           8
        .value_kind:     global_buffer
    .group_segment_fixed_size: 6600
    .kernarg_segment_align: 8
    .kernarg_segment_size: 104
    .language:       OpenCL C
    .language_version:
      - 2
      - 0
    .max_flat_workgroup_size: 55
    .name:           bluestein_single_fwd_len165_dim1_sp_op_CI_CI
    .private_segment_fixed_size: 0
    .sgpr_count:     22
    .sgpr_spill_count: 0
    .symbol:         bluestein_single_fwd_len165_dim1_sp_op_CI_CI.kd
    .uniform_work_group_size: 1
    .uses_dynamic_stack: false
    .vgpr_count:     164
    .vgpr_spill_count: 0
    .wavefront_size: 64
amdhsa.target:   amdgcn-amd-amdhsa--gfx906
amdhsa.version:
  - 1
  - 2
...

	.end_amdgpu_metadata
